;; amdgpu-corpus repo=zjin-lcf/HeCBench kind=compiled arch=gfx1250 opt=O3
	.amdgcn_target "amdgcn-amd-amdhsa--gfx1250"
	.amdhsa_code_object_version 6
	.text
	.protected	_Z17intt_3_64k_modcrtPjPKm ; -- Begin function _Z17intt_3_64k_modcrtPjPKm
	.globl	_Z17intt_3_64k_modcrtPjPKm
	.p2align	8
	.type	_Z17intt_3_64k_modcrtPjPKm,@function
_Z17intt_3_64k_modcrtPjPKm:             ; @_Z17intt_3_64k_modcrtPjPKm
; %bb.0:
	s_load_b64 s[2:3], s[0:1], 0x8
	s_bfe_u32 s5, ttmp6, 0x4000c
	v_dual_lshlrev_b32 v34, 3, v0 :: v_dual_bitop2_b32 v35, 1, v0 bitop3:0x40
	s_add_co_i32 s5, s5, 1
	s_and_b32 s4, ttmp6, 15
	s_mul_i32 s5, ttmp9, s5
	s_getreg_b32 s6, hwreg(HW_REG_IB_STS2, 6, 4)
	s_add_co_i32 s4, s4, s5
	s_cmp_eq_u32 s6, 0
	v_and_b32_e32 v1, 0x1f0, v34
	s_cselect_b32 s4, ttmp9, s4
	s_delay_alu instid0(SALU_CYCLE_1) | instskip(SKIP_1) | instid1(VALU_DEP_1)
	s_lshl_b32 s8, s4, 9
	s_mov_b32 s4, -1
	v_or3_b32 v1, v35, v1, s8
	s_wait_kmcnt 0x0
	s_clause 0x7
	global_load_b64 v[6:7], v1, s[2:3] offset:96 scale_offset
	global_load_b64 v[8:9], v1, s[2:3] offset:32 scale_offset
	global_load_b64 v[2:3], v1, s[2:3] scale_offset
	global_load_b64 v[18:19], v1, s[2:3] offset:16 scale_offset
	global_load_b64 v[16:17], v1, s[2:3] offset:48 scale_offset
	;; [unrolled: 1-line block ×5, first 2 shown]
	s_wait_xcnt 0x0
	s_mov_b32 s3, 0
	s_wait_loadcnt 0x6
	v_sub_nc_u64_e32 v[10:11], v[8:9], v[6:7]
	v_cmp_lt_u64_e32 vcc_lo, v[8:9], v[6:7]
	s_delay_alu instid0(VALU_DEP_2) | instskip(NEXT) | instid1(VALU_DEP_1)
	v_add_nc_u64_e32 v[20:21], 0xffffffff00000001, v[10:11]
	v_dual_mov_b32 v23, 0 :: v_dual_cndmask_b32 v1, v11, v21, vcc_lo
	s_delay_alu instid0(VALU_DEP_1) | instskip(NEXT) | instid1(VALU_DEP_1)
	v_dual_cndmask_b32 v20, v10, v20 :: v_dual_mov_b32 v11, v23
	v_alignbit_b32 v10, v1, v20, 16
	v_lshlrev_b32_e32 v22, 16, v20
	s_delay_alu instid0(VALU_DEP_1) | instskip(SKIP_3) | instid1(VALU_DEP_3)
	v_add_nc_u64_e32 v[20:21], v[10:11], v[22:23]
	v_sub_co_u32 v11, s2, 0, v10
	v_mov_b32_e32 v22, -1
	s_xor_b32 s2, s2, -1
	v_cmp_ne_u32_e32 vcc_lo, 0, v20
	v_mov_b32_e32 v23, v20
	s_or_b32 s5, s2, vcc_lo
	s_delay_alu instid0(SALU_CYCLE_1)
	s_and_saveexec_b32 s2, s5
	s_cbranch_execz .LBB0_6
; %bb.1:
	s_mov_b64 s[4:5], 0xffffffff
	s_delay_alu instid0(SALU_CYCLE_1)
	v_cmp_lt_u64_e32 vcc_lo, s[4:5], v[20:21]
	s_and_saveexec_b32 s4, vcc_lo
	s_cbranch_execz .LBB0_5
; %bb.2:
	v_mov_b32_e32 v11, -1
	s_mov_b32 s5, exec_lo
	v_cmpx_ne_u32_e32 0, v10
; %bb.3:
	v_not_b32_e32 v11, v10
	v_add_nc_u32_e32 v23, 1, v20
	s_mov_b32 s3, exec_lo
; %bb.4:
	s_or_b32 exec_lo, exec_lo, s5
	s_delay_alu instid0(SALU_CYCLE_1)
	s_and_b32 s3, s3, exec_lo
.LBB0_5:
	s_or_b32 exec_lo, exec_lo, s4
	v_mov_b32_e32 v22, v23
	s_or_not1_b32 s4, s3, exec_lo
.LBB0_6:
	s_or_b32 exec_lo, exec_lo, s2
	s_and_saveexec_b32 s2, s4
; %bb.7:
	s_delay_alu instid0(VALU_DEP_1)
	v_mov_b64_e32 v[20:21], v[22:23]
; %bb.8:
	s_or_b32 exec_lo, exec_lo, s2
	v_lshrrev_b32_e32 v1, 16, v1
	v_cmp_ne_u32_e64 s2, 0, v22
	s_delay_alu instid0(VALU_DEP_2) | instskip(SKIP_2) | instid1(SALU_CYCLE_1)
	v_cmp_ge_u32_e32 vcc_lo, v11, v1
	v_sub_nc_u32_e32 v36, v11, v1
                                        ; implicit-def: $vgpr10_vgpr11
	s_or_b32 s2, vcc_lo, s2
	s_and_saveexec_b32 s3, s2
	s_delay_alu instid0(SALU_CYCLE_1)
	s_xor_b32 s2, exec_lo, s3
; %bb.9:
	v_dual_mov_b32 v10, 0 :: v_dual_mov_b32 v11, v20
; %bb.10:
	s_and_not1_saveexec_b32 s2, s2
; %bb.11:
	v_add_co_u32 v36, s3, v36, 1
	s_delay_alu instid0(VALU_DEP_1)
	v_cndmask_b32_e64 v11, -2, -1, s3
	v_mov_b32_e32 v10, 0
; %bb.12:
	s_or_b32 exec_lo, exec_lo, s2
	s_wait_loadcnt 0x0
	v_sub_nc_u64_e32 v[20:21], v[16:17], v[12:13]
	v_cmp_lt_u64_e32 vcc_lo, v[16:17], v[12:13]
	s_mov_b32 s3, 0
	s_mov_b32 s4, -1
	s_delay_alu instid0(VALU_DEP_2) | instskip(NEXT) | instid1(VALU_DEP_1)
	v_add_nc_u64_e32 v[22:23], 0xffffffff00000001, v[20:21]
	v_dual_mov_b32 v27, 0 :: v_dual_cndmask_b32 v1, v21, v23, vcc_lo
	s_delay_alu instid0(VALU_DEP_1) | instskip(NEXT) | instid1(VALU_DEP_1)
	v_dual_cndmask_b32 v20, v20, v22 :: v_dual_mov_b32 v25, v27
	v_dual_mov_b32 v22, -1 :: v_dual_lshlrev_b32 v26, 16, v20
	s_delay_alu instid0(VALU_DEP_3) | instskip(NEXT) | instid1(VALU_DEP_1)
	v_alignbit_b32 v24, v1, v20, 16
	v_add_nc_u64_e32 v[20:21], v[24:25], v[26:27]
	v_sub_co_u32 v23, s2, 0, v24
	s_xor_b32 s2, s2, -1
	v_cmp_ne_u32_e32 vcc_lo, 0, v20
	s_or_b32 s5, s2, vcc_lo
	s_delay_alu instid0(SALU_CYCLE_1)
	s_and_saveexec_b32 s2, s5
	s_cbranch_execz .LBB0_18
; %bb.13:
	s_mov_b64 s[4:5], 0xffffffff
	v_mov_b32_e32 v22, v20
	v_cmp_lt_u64_e32 vcc_lo, s[4:5], v[20:21]
	s_and_saveexec_b32 s4, vcc_lo
	s_cbranch_execz .LBB0_17
; %bb.14:
	v_dual_mov_b32 v23, -1 :: v_dual_mov_b32 v22, v20
	s_mov_b32 s5, exec_lo
	v_cmpx_ne_u32_e32 0, v24
; %bb.15:
	v_not_b32_e32 v23, v24
	v_add_nc_u32_e32 v22, 1, v20
	s_mov_b32 s3, exec_lo
; %bb.16:
	s_or_b32 exec_lo, exec_lo, s5
	s_delay_alu instid0(SALU_CYCLE_1)
	s_and_b32 s3, s3, exec_lo
.LBB0_17:
	s_or_b32 exec_lo, exec_lo, s4
	s_delay_alu instid0(SALU_CYCLE_1)
	s_or_not1_b32 s4, s3, exec_lo
.LBB0_18:
	s_or_b32 exec_lo, exec_lo, s2
	s_and_saveexec_b32 s2, s4
; %bb.19:
	v_mov_b64_e32 v[20:21], v[22:23]
; %bb.20:
	s_or_b32 exec_lo, exec_lo, s2
	v_lshrrev_b32_e32 v1, 16, v1
	v_cmp_ne_u32_e64 s2, 0, v22
	s_delay_alu instid0(VALU_DEP_2) | instskip(SKIP_2) | instid1(SALU_CYCLE_1)
	v_cmp_ge_u32_e32 vcc_lo, v23, v1
	v_sub_nc_u32_e32 v1, v23, v1
                                        ; implicit-def: $vgpr22_vgpr23
	s_or_b32 s2, vcc_lo, s2
	s_and_saveexec_b32 s3, s2
	s_delay_alu instid0(SALU_CYCLE_1)
	s_xor_b32 s2, exec_lo, s3
; %bb.21:
	v_dual_mov_b32 v22, 0 :: v_dual_mov_b32 v23, v20
; %bb.22:
	s_and_not1_saveexec_b32 s2, s2
; %bb.23:
	v_add_co_u32 v1, s3, v1, 1
	s_delay_alu instid0(VALU_DEP_1)
	v_cndmask_b32_e64 v23, -2, -1, s3
	v_mov_b32_e32 v22, 0
; %bb.24:
	s_or_b32 exec_lo, exec_lo, s2
	v_sub_nc_u64_e32 v[20:21], v[18:19], v[14:15]
	s_mov_b64 s[2:3], 0xffffffff00000001
	s_mov_b64 s[4:5], 0xffffffff
	v_mov_b64_e32 v[28:29], 0xffffffff00000000
	s_mov_b32 s6, -1
	v_mov_b32_e32 v33, 0
	s_delay_alu instid0(VALU_DEP_3) | instskip(SKIP_1) | instid1(VALU_DEP_1)
	v_add_nc_u64_e32 v[26:27], 0xffffffff00000001, v[20:21]
	v_or_b32_e32 v22, v22, v1
	v_cmp_lt_u64_e32 vcc_lo, s[2:3], v[22:23]
	v_cmp_lt_u64_e64 s2, v[18:19], v[14:15]
	s_mov_b32 s3, 0
	v_cndmask_b32_e64 v27, v21, v27, s2
	v_add_nc_u64_e32 v[24:25], s[4:5], v[22:23]
	s_delay_alu instid0(VALU_DEP_1) | instskip(NEXT) | instid1(VALU_DEP_2)
	v_dual_cndmask_b32 v26, v20, v26, s2 :: v_dual_cndmask_b32 v24, v22, v24, vcc_lo
	v_cndmask_b32_e32 v25, v23, v25, vcc_lo
	s_delay_alu instid0(VALU_DEP_1) | instskip(NEXT) | instid1(VALU_DEP_1)
	v_add_nc_u64_e32 v[20:21], v[24:25], v[26:27]
	v_add_nc_u64_e32 v[22:23], s[4:5], v[20:21]
	v_cmp_lt_u64_e32 vcc_lo, v[20:21], v[24:25]
	s_delay_alu instid0(VALU_DEP_2) | instskip(NEXT) | instid1(VALU_DEP_1)
	v_dual_cndmask_b32 v21, v21, v23 :: v_dual_cndmask_b32 v20, v20, v22
	v_add_nc_u64_e32 v[22:23], s[4:5], v[20:21]
	s_delay_alu instid0(VALU_DEP_1) | instskip(NEXT) | instid1(VALU_DEP_1)
	v_min_u64 v[20:21], v[22:23], v[20:21]
	v_dual_mov_b32 v23, v33 :: v_dual_lshrrev_b32 v32, 8, v21
	s_delay_alu instid0(VALU_DEP_2) | instskip(NEXT) | instid1(VALU_DEP_1)
	v_alignbit_b32 v22, v21, v20, 8
	v_add_nc_u64_e32 v[30:31], v[22:23], v[32:33]
	v_lshlrev_b32_e32 v33, 24, v20
                                        ; implicit-def: $vgpr22_vgpr23
	s_delay_alu instid0(VALU_DEP_1) | instskip(NEXT) | instid1(VALU_DEP_3)
	v_sub_co_u32 v20, s2, v33, v32
	v_cmp_ne_u32_e32 vcc_lo, 0, v30
	s_xor_b32 s2, s2, -1
	s_delay_alu instid0(SALU_CYCLE_1) | instskip(NEXT) | instid1(SALU_CYCLE_1)
	s_or_b32 s7, s2, vcc_lo
	s_and_saveexec_b32 s2, s7
	s_cbranch_execnz .LBB0_57
; %bb.25:
	s_or_b32 exec_lo, exec_lo, s2
	v_mov_b64_e32 v[30:31], 0xffffffff
	s_and_saveexec_b32 s2, s6
	s_cbranch_execnz .LBB0_62
.LBB0_26:
	s_or_b32 exec_lo, exec_lo, s2
	s_and_saveexec_b32 s2, s3
.LBB0_27:
	s_delay_alu instid0(VALU_DEP_1) | instskip(NEXT) | instid1(VALU_DEP_1)
	v_or_b32_e32 v31, v29, v31
	v_mov_b64_e32 v[22:23], v[30:31]
.LBB0_28:
	s_or_b32 exec_lo, exec_lo, s2
	v_add_nc_u64_e32 v[18:19], v[14:15], v[18:19]
	v_add_nc_u64_e32 v[16:17], v[12:13], v[16:17]
	s_mov_b64 s[4:5], 0xffffffff
	s_mov_b32 s3, 0
	s_mov_b32 s6, -1
	s_delay_alu instid0(VALU_DEP_2) | instskip(SKIP_1) | instid1(VALU_DEP_3)
	v_add_nc_u64_e32 v[20:21], s[4:5], v[18:19]
	v_cmp_lt_u64_e32 vcc_lo, v[18:19], v[14:15]
	v_add_nc_u64_e32 v[14:15], s[4:5], v[16:17]
	v_cmp_lt_u64_e64 s2, v[16:17], v[12:13]
	s_delay_alu instid0(VALU_DEP_4) | instskip(NEXT) | instid1(VALU_DEP_2)
	v_dual_cndmask_b32 v13, v19, v21 :: v_dual_cndmask_b32 v12, v18, v20
	v_dual_cndmask_b32 v17, v17, v15, s2 :: v_dual_cndmask_b32 v16, v16, v14, s2
	s_delay_alu instid0(VALU_DEP_2) | instskip(NEXT) | instid1(VALU_DEP_2)
	v_add_nc_u64_e32 v[14:15], s[4:5], v[12:13]
	v_add_nc_u64_e32 v[18:19], s[4:5], v[16:17]
	s_delay_alu instid0(VALU_DEP_2) | instskip(NEXT) | instid1(VALU_DEP_2)
	v_min_u64 v[14:15], v[14:15], v[12:13]
	v_min_u64 v[12:13], v[18:19], v[16:17]
	s_delay_alu instid0(VALU_DEP_1) | instskip(SKIP_1) | instid1(VALU_DEP_2)
	v_sub_nc_u64_e32 v[16:17], v[14:15], v[12:13]
	v_cmp_lt_u64_e32 vcc_lo, v[14:15], v[12:13]
	v_add_nc_u64_e32 v[18:19], 0xffffffff00000001, v[16:17]
	s_delay_alu instid0(VALU_DEP_1) | instskip(NEXT) | instid1(VALU_DEP_1)
	v_dual_mov_b32 v29, 0 :: v_dual_cndmask_b32 v1, v17, v19, vcc_lo
	v_dual_cndmask_b32 v16, v16, v18 :: v_dual_mov_b32 v21, v29
	s_delay_alu instid0(VALU_DEP_1) | instskip(NEXT) | instid1(VALU_DEP_3)
	v_dual_mov_b32 v18, -1 :: v_dual_lshlrev_b32 v28, 16, v16
	v_alignbit_b32 v20, v1, v16, 16
	s_delay_alu instid0(VALU_DEP_1) | instskip(SKIP_4) | instid1(SALU_CYCLE_1)
	v_add_nc_u64_e32 v[16:17], v[20:21], v[28:29]
	v_sub_co_u32 v19, s2, 0, v20
	s_xor_b32 s2, s2, -1
	v_cmp_ne_u32_e32 vcc_lo, 0, v16
	s_or_b32 s7, s2, vcc_lo
	s_and_saveexec_b32 s2, s7
	s_cbranch_execz .LBB0_34
; %bb.29:
	v_cmp_lt_u64_e32 vcc_lo, s[4:5], v[16:17]
	v_mov_b32_e32 v18, v16
	s_and_saveexec_b32 s4, vcc_lo
	s_cbranch_execz .LBB0_33
; %bb.30:
	v_dual_mov_b32 v19, -1 :: v_dual_mov_b32 v18, v16
	s_mov_b32 s5, exec_lo
	v_cmpx_ne_u32_e32 0, v20
; %bb.31:
	v_not_b32_e32 v19, v20
	v_add_nc_u32_e32 v18, 1, v16
	s_mov_b32 s3, exec_lo
; %bb.32:
	s_or_b32 exec_lo, exec_lo, s5
	s_delay_alu instid0(SALU_CYCLE_1)
	s_and_b32 s3, s3, exec_lo
.LBB0_33:
	s_or_b32 exec_lo, exec_lo, s4
	s_delay_alu instid0(SALU_CYCLE_1)
	s_or_not1_b32 s6, s3, exec_lo
.LBB0_34:
	s_or_b32 exec_lo, exec_lo, s2
	s_and_saveexec_b32 s2, s6
; %bb.35:
	v_mov_b64_e32 v[16:17], v[18:19]
; %bb.36:
	s_or_b32 exec_lo, exec_lo, s2
	v_lshrrev_b32_e32 v1, 16, v1
	v_cmp_ne_u32_e64 s2, 0, v18
                                        ; implicit-def: $vgpr20_vgpr21
	s_delay_alu instid0(VALU_DEP_2) | instskip(SKIP_2) | instid1(SALU_CYCLE_1)
	v_cmp_ge_u32_e32 vcc_lo, v19, v1
	v_sub_nc_u32_e32 v33, v19, v1
	s_or_b32 s2, vcc_lo, s2
	s_and_saveexec_b32 s3, s2
	s_delay_alu instid0(SALU_CYCLE_1)
	s_xor_b32 s2, exec_lo, s3
; %bb.37:
	v_dual_mov_b32 v20, 0 :: v_dual_mov_b32 v21, v16
; %bb.38:
	s_and_not1_saveexec_b32 s2, s2
; %bb.39:
	v_add_co_u32 v33, s3, v33, 1
	s_delay_alu instid0(VALU_DEP_1)
	v_cndmask_b32_e64 v21, -2, -1, s3
	v_mov_b32_e32 v20, 0
; %bb.40:
	s_or_b32 exec_lo, exec_lo, s2
	v_sub_nc_u64_e32 v[16:17], v[26:27], v[24:25]
	v_cmp_lt_u64_e32 vcc_lo, v[26:27], v[24:25]
	s_mov_b64 s[6:7], 0xffffffff00000001
	s_delay_alu instid0(VALU_DEP_2) | instskip(NEXT) | instid1(VALU_DEP_1)
	v_add_nc_u64_e32 v[18:19], 0xffffffff00000001, v[16:17]
	v_dual_cndmask_b32 v1, v17, v19 :: v_dual_cndmask_b32 v16, v16, v18
	s_delay_alu instid0(VALU_DEP_1) | instskip(NEXT) | instid1(VALU_DEP_2)
	v_lshlrev_b32_e32 v17, 8, v16
	v_alignbit_b32 v16, v1, v16, 24
	v_lshrrev_b32_e32 v1, 24, v1
	s_delay_alu instid0(VALU_DEP_3) | instskip(SKIP_1) | instid1(VALU_DEP_2)
	v_sub_nc_u32_e32 v18, 0, v17
	v_cmp_eq_u32_e32 vcc_lo, 0, v17
	v_sub_co_u32 v16, s3, v18, v16
	s_and_b32 vcc_lo, s3, vcc_lo
	v_cmp_eq_u32_e64 s2, -1, v16
	s_delay_alu instid0(VALU_DEP_1) | instskip(NEXT) | instid1(VALU_DEP_1)
	v_cndmask_b32_e64 v18, -2, -1, s2
	v_cndmask_b32_e32 v17, v17, v18, vcc_lo
	v_add_co_ci_u32_e64 v18, null, 0, v16, vcc_lo
	s_delay_alu instid0(VALU_DEP_2)
	v_sub_co_u32 v19, s3, v17, v1
	s_and_saveexec_b32 s2, s3
; %bb.41:
	v_add_nc_u32_e32 v1, -1, v19
	v_add_co_u32 v18, vcc_lo, v18, 1
	s_delay_alu instid0(VALU_DEP_2)
	v_cndmask_b32_e32 v19, v1, v19, vcc_lo
; %bb.42:
	s_or_b32 exec_lo, exec_lo, s2
	v_add_nc_u64_e32 v[8:9], v[6:7], v[8:9]
	v_add_nc_u64_e32 v[16:17], v[4:5], v[2:3]
	s_mov_b64 s[4:5], 0xffffffff
	v_or_b32_e32 v10, v10, v36
	v_add_nc_u64_e32 v[14:15], v[12:13], v[14:15]
	v_lshlrev_b32_e32 v1, 3, v34
	v_add_nc_u64_e32 v[24:25], s[4:5], v[8:9]
	v_cmp_lt_u64_e32 vcc_lo, v[8:9], v[6:7]
	v_add_nc_u64_e32 v[6:7], s[4:5], v[16:17]
	v_cmp_lt_u64_e64 s2, v[16:17], v[4:5]
	v_add_nc_u64_e32 v[30:31], s[4:5], v[14:15]
	v_cmp_lt_u64_e64 s3, v[14:15], v[12:13]
	v_dual_cndmask_b32 v9, v9, v25 :: v_dual_cndmask_b32 v8, v8, v24
	s_delay_alu instid0(VALU_DEP_4) | instskip(SKIP_2) | instid1(VALU_DEP_4)
	v_dual_cndmask_b32 v17, v17, v7, s2 :: v_dual_cndmask_b32 v16, v16, v6, s2
	v_cmp_lt_u64_e32 vcc_lo, s[6:7], v[10:11]
	v_cmp_lt_u64_e64 s2, v[2:3], v[4:5]
	v_add_nc_u64_e32 v[6:7], s[4:5], v[8:9]
	v_cndmask_b32_e64 v13, v15, v31, s3
	v_add_nc_u64_e32 v[24:25], s[4:5], v[16:17]
	s_delay_alu instid0(VALU_DEP_3) | instskip(NEXT) | instid1(VALU_DEP_2)
	v_min_u64 v[6:7], v[6:7], v[8:9]
	v_min_u64 v[8:9], v[24:25], v[16:17]
	v_sub_nc_u64_e32 v[16:17], v[2:3], v[4:5]
	v_add_nc_u64_e32 v[24:25], s[4:5], v[10:11]
	s_delay_alu instid0(VALU_DEP_2) | instskip(NEXT) | instid1(VALU_DEP_2)
	v_add_nc_u64_e32 v[26:27], 0xffffffff00000001, v[16:17]
	v_dual_cndmask_b32 v3, v11, v25 :: v_dual_cndmask_b32 v2, v10, v24
	s_delay_alu instid0(VALU_DEP_2) | instskip(NEXT) | instid1(VALU_DEP_1)
	v_dual_cndmask_b32 v5, v17, v27, s2 :: v_dual_cndmask_b32 v4, v16, v26, s2
	v_add_nc_u64_e32 v[24:25], v[2:3], v[4:5]
	s_delay_alu instid0(VALU_DEP_1) | instskip(SKIP_1) | instid1(VALU_DEP_1)
	v_add_nc_u64_e32 v[26:27], s[4:5], v[24:25]
	v_add_nc_u64_e32 v[28:29], v[6:7], v[8:9]
	;; [unrolled: 1-line block ×3, first 2 shown]
	v_cmp_lt_u64_e32 vcc_lo, v[28:29], v[6:7]
	s_delay_alu instid0(VALU_DEP_2) | instskip(NEXT) | instid1(VALU_DEP_3)
	v_dual_cndmask_b32 v12, v14, v30, s3 :: v_dual_cndmask_b32 v11, v29, v11, vcc_lo
	v_cndmask_b32_e32 v10, v28, v10, vcc_lo
	s_delay_alu instid0(VALU_DEP_2) | instskip(SKIP_1) | instid1(VALU_DEP_3)
	v_add_nc_u64_e32 v[14:15], s[4:5], v[12:13]
	v_cmp_lt_u64_e32 vcc_lo, v[24:25], v[2:3]
	v_add_nc_u64_e32 v[16:17], s[4:5], v[10:11]
	s_delay_alu instid0(VALU_DEP_3) | instskip(NEXT) | instid1(VALU_DEP_2)
	v_min_u64 v[14:15], v[14:15], v[12:13]
	v_min_u64 v[16:17], v[16:17], v[10:11]
	v_dual_cndmask_b32 v11, v25, v27 :: v_dual_cndmask_b32 v10, v24, v26
	v_cmp_lt_u64_e32 vcc_lo, s[6:7], v[22:23]
	s_delay_alu instid0(VALU_DEP_2) | instskip(NEXT) | instid1(VALU_DEP_1)
	v_add_nc_u64_e32 v[12:13], s[4:5], v[10:11]
	v_min_u64 v[10:11], v[12:13], v[10:11]
	v_add_nc_u64_e32 v[12:13], s[4:5], v[22:23]
	s_delay_alu instid0(VALU_DEP_1) | instskip(SKIP_1) | instid1(VALU_DEP_1)
	v_cndmask_b32_e32 v13, v23, v13, vcc_lo
	v_add_nc_u64_e32 v[24:25], v[14:15], v[16:17]
	v_add_nc_u64_e32 v[26:27], s[4:5], v[24:25]
	v_cmp_lt_u64_e64 s2, v[24:25], v[14:15]
	s_delay_alu instid0(VALU_DEP_1) | instskip(NEXT) | instid1(VALU_DEP_1)
	v_dual_cndmask_b32 v12, v22, v12, vcc_lo :: v_dual_cndmask_b32 v25, v25, v27, s2
	v_add_nc_u64_e32 v[22:23], v[12:13], v[10:11]
	s_delay_alu instid0(VALU_DEP_1) | instskip(SKIP_1) | instid1(VALU_DEP_2)
	v_add_nc_u64_e32 v[28:29], s[4:5], v[22:23]
	v_cmp_lt_u64_e32 vcc_lo, v[22:23], v[12:13]
	v_dual_cndmask_b32 v24, v24, v26, s2 :: v_dual_cndmask_b32 v23, v23, v29, vcc_lo
	s_delay_alu instid0(VALU_DEP_1) | instskip(NEXT) | instid1(VALU_DEP_4)
	v_add_nc_u64_e32 v[26:27], s[4:5], v[24:25]
	v_cndmask_b32_e32 v22, v22, v28, vcc_lo
	s_delay_alu instid0(VALU_DEP_2) | instskip(NEXT) | instid1(VALU_DEP_2)
	v_min_u64 v[24:25], v[26:27], v[24:25]
	v_add_nc_u64_e32 v[26:27], s[4:5], v[22:23]
	s_delay_alu instid0(VALU_DEP_1) | instskip(NEXT) | instid1(VALU_DEP_3)
	v_min_u64 v[22:23], v[26:27], v[22:23]
	v_add_nc_u64_e32 v[26:27], s[4:5], v[24:25]
	v_cmp_lt_u64_e32 vcc_lo, s[6:7], v[24:25]
	s_delay_alu instid0(VALU_DEP_2) | instskip(NEXT) | instid1(VALU_DEP_1)
	v_dual_cndmask_b32 v25, v25, v27 :: v_dual_lshlrev_b32 v28, 2, v0
	v_dual_cndmask_b32 v24, v24, v26, vcc_lo :: v_dual_bitop2_b32 v32, 4, v28 bitop3:0x40
	v_cmp_eq_u32_e32 vcc_lo, 1, v35
	ds_store_b64 v1, v[24:25]
	s_and_saveexec_b32 s3, vcc_lo
	s_cbranch_execz .LBB0_48
; %bb.43:
	v_mul_u32_u24_e32 v26, 3, v32
	s_mov_b32 s7, 0
	s_mov_b32 s9, -1
	s_delay_alu instid0(VALU_DEP_1) | instskip(NEXT) | instid1(VALU_DEP_1)
	v_dual_sub_nc_u32 v24, 64, v26 :: v_dual_sub_nc_u32 v25, 32, v26
	v_lshrrev_b64 v[30:31], v24, v[22:23]
	s_delay_alu instid0(VALU_DEP_2) | instskip(SKIP_1) | instid1(VALU_DEP_1)
	v_lshrrev_b64 v[24:25], v25, v[22:23]
	v_mov_b32_e32 v25, 0
	v_add_nc_u64_e32 v[28:29], v[24:25], v[30:31]
	v_lshlrev_b32_e32 v31, v26, v22
	v_mov_b64_e32 v[26:27], 0xffffffff00000000
                                        ; implicit-def: $vgpr22_vgpr23
	s_delay_alu instid0(VALU_DEP_2) | instskip(NEXT) | instid1(VALU_DEP_4)
	v_sub_co_u32 v24, s6, v31, v30
	v_cmp_ne_u32_e64 s2, 0, v28
	s_xor_b32 s6, s6, -1
	s_delay_alu instid0(SALU_CYCLE_1) | instskip(NEXT) | instid1(SALU_CYCLE_1)
	s_or_b32 s2, s6, s2
	s_and_saveexec_b32 s6, s2
	s_cbranch_execnz .LBB0_106
; %bb.44:
	s_or_b32 exec_lo, exec_lo, s6
	v_mov_b64_e32 v[28:29], 0xffffffff
	s_and_saveexec_b32 s2, s9
	s_cbranch_execnz .LBB0_111
.LBB0_45:
	s_or_b32 exec_lo, exec_lo, s2
	s_and_saveexec_b32 s2, s7
.LBB0_46:
	s_delay_alu instid0(VALU_DEP_1) | instskip(NEXT) | instid1(VALU_DEP_1)
	v_or_b32_e32 v29, v27, v29
	v_mov_b64_e32 v[22:23], v[28:29]
.LBB0_47:
	s_or_b32 exec_lo, exec_lo, s2
.LBB0_48:
	s_delay_alu instid0(SALU_CYCLE_1) | instskip(SKIP_4) | instid1(VALU_DEP_2)
	s_or_b32 exec_lo, exec_lo, s3
	v_sub_nc_u64_e32 v[24:25], v[8:9], v[6:7]
	v_or_b32_e32 v20, v20, v33
	s_mov_b64 s[6:7], 0xffffffff00000001
	v_cmp_lt_u64_e64 s3, v[8:9], v[6:7]
	v_add_nc_u64_e32 v[26:27], s[4:5], v[20:21]
	v_cmp_lt_u64_e64 s2, s[6:7], v[20:21]
	v_add_nc_u64_e32 v[28:29], 0xffffffff00000001, v[24:25]
	s_delay_alu instid0(VALU_DEP_2) | instskip(NEXT) | instid1(VALU_DEP_2)
	v_dual_cndmask_b32 v7, v21, v27, s2 :: v_dual_cndmask_b32 v6, v20, v26, s2
	v_dual_cndmask_b32 v9, v25, v29, s3 :: v_dual_cndmask_b32 v8, v24, v28, s3
	s_delay_alu instid0(VALU_DEP_1) | instskip(NEXT) | instid1(VALU_DEP_1)
	v_add_nc_u64_e32 v[20:21], v[6:7], v[8:9]
	v_add_nc_u64_e32 v[24:25], s[4:5], v[20:21]
	v_cmp_lt_u64_e64 s2, v[20:21], v[6:7]
	s_delay_alu instid0(VALU_DEP_1) | instskip(SKIP_3) | instid1(VALU_DEP_2)
	v_dual_cndmask_b32 v21, v21, v25, s2 :: v_dual_cndmask_b32 v20, v20, v24, s2
	s_load_b64 s[2:3], s[0:1], 0x0
	s_wait_xcnt 0x0
	v_cmp_lt_u64_e64 s0, s[6:7], v[22:23]
	v_add_nc_u64_e32 v[24:25], s[4:5], v[20:21]
	s_delay_alu instid0(VALU_DEP_1) | instskip(SKIP_1) | instid1(VALU_DEP_1)
	v_min_u64 v[24:25], v[24:25], v[20:21]
	v_add_nc_u64_e32 v[20:21], s[4:5], v[22:23]
	v_dual_cndmask_b32 v21, v23, v21, s0 :: v_dual_cndmask_b32 v20, v22, v20, s0
	ds_store_b64 v1, v[20:21] offset:8
	s_and_saveexec_b32 s1, vcc_lo
	s_cbranch_execz .LBB0_54
; %bb.49:
	v_mul_u32_u24_e32 v22, 6, v32
	s_mov_b32 s5, 0
	s_mov_b32 s9, -1
	s_delay_alu instid0(VALU_DEP_1) | instskip(SKIP_2) | instid1(VALU_DEP_3)
	v_dual_sub_nc_u32 v20, 64, v22 :: v_dual_sub_nc_u32 v21, 32, v22
	v_lshlrev_b64_e32 v[30:31], v22, v[24:25]
	v_mov_b64_e32 v[22:23], 0xffffffff00000000
	v_lshrrev_b64 v[28:29], v20, v[24:25]
	s_delay_alu instid0(VALU_DEP_4) | instskip(SKIP_1) | instid1(VALU_DEP_1)
	v_lshrrev_b64 v[20:21], v21, v[24:25]
	v_mov_b32_e32 v21, 0
                                        ; implicit-def: $vgpr24_vgpr25
	v_add_nc_u64_e32 v[26:27], v[20:21], v[28:29]
	v_sub_co_u32 v20, s4, v30, v28
	s_xor_b32 s4, s4, -1
	v_cmp_ne_u32_e64 s0, 0, v26
	s_or_b32 s0, s4, s0
	s_delay_alu instid0(SALU_CYCLE_1)
	s_and_saveexec_b32 s4, s0
	s_cbranch_execnz .LBB0_112
; %bb.50:
	s_or_b32 exec_lo, exec_lo, s4
	v_mov_b64_e32 v[26:27], 0xffffffff
	s_and_saveexec_b32 s0, s9
	s_cbranch_execnz .LBB0_117
.LBB0_51:
	s_or_b32 exec_lo, exec_lo, s0
	s_and_saveexec_b32 s0, s5
.LBB0_52:
	s_delay_alu instid0(VALU_DEP_1) | instskip(NEXT) | instid1(VALU_DEP_1)
	v_or_b32_e32 v27, v23, v27
	v_mov_b64_e32 v[24:25], v[26:27]
.LBB0_53:
	s_or_b32 exec_lo, exec_lo, s0
.LBB0_54:
	s_delay_alu instid0(SALU_CYCLE_1) | instskip(SKIP_1) | instid1(VALU_DEP_1)
	s_or_b32 exec_lo, exec_lo, s1
	s_mov_b64 s[4:5], 0xffffffff
	v_cmp_lt_u64_e64 s0, s[6:7], v[24:25]
	v_add_nc_u64_e32 v[20:21], s[4:5], v[24:25]
	v_add_nc_u64_e32 v[22:23], s[4:5], v[18:19]
	v_mul_u32_u24_e32 v28, 9, v32
	s_delay_alu instid0(VALU_DEP_3) | instskip(SKIP_1) | instid1(SALU_CYCLE_1)
	v_dual_cndmask_b32 v21, v25, v21, s0 :: v_dual_cndmask_b32 v20, v24, v20, s0
	s_mov_b64 s[0:1], 0xffffffff00000001
	v_cmp_lt_u64_e64 s0, s[0:1], v[18:19]
	v_cmp_lt_u64_e64 s1, v[4:5], v[2:3]
	ds_store_b64 v1, v[20:21] offset:16
	v_sub_nc_u64_e32 v[20:21], v[4:5], v[2:3]
	v_dual_cndmask_b32 v3, v19, v23, s0 :: v_dual_cndmask_b32 v2, v18, v22, s0
	s_delay_alu instid0(VALU_DEP_2) | instskip(NEXT) | instid1(VALU_DEP_1)
	v_add_nc_u64_e32 v[24:25], 0xffffffff00000001, v[20:21]
	v_dual_cndmask_b32 v5, v21, v25, s1 :: v_dual_cndmask_b32 v4, v20, v24, s1
	s_mov_b32 s1, exec_lo
	s_delay_alu instid0(VALU_DEP_1) | instskip(NEXT) | instid1(VALU_DEP_1)
	v_add_nc_u64_e32 v[18:19], v[2:3], v[4:5]
	v_add_nc_u64_e32 v[20:21], s[4:5], v[18:19]
	v_cmp_lt_u64_e64 s0, v[18:19], v[2:3]
	s_delay_alu instid0(VALU_DEP_1) | instskip(NEXT) | instid1(VALU_DEP_1)
	v_dual_cndmask_b32 v19, v19, v21, s0 :: v_dual_cndmask_b32 v18, v18, v20, s0
	v_add_nc_u64_e32 v[20:21], s[4:5], v[18:19]
	s_mov_b32 s5, 0
	s_delay_alu instid0(VALU_DEP_1)
	v_min_u64 v[18:19], v[20:21], v[18:19]
                                        ; implicit-def: $vgpr20_vgpr21
	v_cmpx_lt_i32_e32 23, v28
	s_xor_b32 s4, exec_lo, s1
	s_cbranch_execnz .LBB0_63
; %bb.55:
	s_and_not1_saveexec_b32 s1, s4
	s_cbranch_execnz .LBB0_82
.LBB0_56:
	s_or_b32 exec_lo, exec_lo, s1
	s_and_saveexec_b32 s1, s5
	s_cbranch_execnz .LBB0_83
	s_branch .LBB0_88
.LBB0_57:
	v_cmp_lt_u64_e32 vcc_lo, s[4:5], v[30:31]
	v_mov_b64_e32 v[28:29], 0xffffffff00000000
	v_mov_b32_e32 v21, v30
	s_mov_b32 s4, 0
	s_mov_b32 s5, 0
                                        ; implicit-def: $vgpr1
	s_and_saveexec_b32 s3, vcc_lo
	s_cbranch_execz .LBB0_61
; %bb.58:
	v_mov_b64_e32 v[28:29], v[20:21]
	s_mov_b32 s5, -1
	s_mov_b32 s6, exec_lo
                                        ; implicit-def: $vgpr1
	v_cmpx_ne_u32_e64 v33, v32
; %bb.59:
	v_dual_add_nc_u32 v1, -1, v20 :: v_dual_add_nc_u32 v29, 1, v30
	s_mov_b32 s4, exec_lo
	s_xor_b32 s5, exec_lo, -1
; %bb.60:
	s_or_b32 exec_lo, exec_lo, s6
	s_delay_alu instid0(SALU_CYCLE_1)
	s_and_b32 s5, s5, exec_lo
	s_and_b32 s4, s4, exec_lo
.LBB0_61:
	s_or_b32 exec_lo, exec_lo, s3
	v_mov_b64_e32 v[22:23], v[20:21]
	v_mov_b32_e32 v20, v1
	s_and_b32 s3, s5, exec_lo
	s_or_not1_b32 s6, s4, exec_lo
	s_or_b32 exec_lo, exec_lo, s2
	v_mov_b64_e32 v[30:31], 0xffffffff
	s_and_saveexec_b32 s2, s6
	s_cbranch_execz .LBB0_26
.LBB0_62:
	v_mov_b32_e32 v21, 0
	s_or_b32 s3, s3, exec_lo
	s_delay_alu instid0(VALU_DEP_1)
	v_mov_b64_e32 v[30:31], v[20:21]
	s_or_b32 exec_lo, exec_lo, s2
	s_and_saveexec_b32 s2, s3
	s_cbranch_execnz .LBB0_27
	s_branch .LBB0_28
.LBB0_63:
                                        ; implicit-def: $vgpr20_vgpr21
	s_mov_b32 s1, exec_lo
	v_cmpx_lt_i32_e32 35, v28
	s_xor_b32 s5, exec_lo, s1
	s_cbranch_execz .LBB0_79
; %bb.64:
	s_delay_alu instid0(VALU_DEP_3)
	v_mov_b64_e32 v[20:21], v[18:19]
	s_mov_b32 s6, exec_lo
	v_cmpx_eq_u32_e32 36, v28
	s_cbranch_execz .LBB0_78
; %bb.65:
	v_dual_mov_b32 v21, 0 :: v_dual_lshlrev_b32 v20, 4, v18
	v_alignbit_b32 v24, v19, v18, 28
	s_mov_b32 s7, 0
	s_mov_b32 s9, -1
	s_delay_alu instid0(VALU_DEP_2) | instskip(NEXT) | instid1(VALU_DEP_1)
	v_mov_b32_e32 v25, v21
	v_add_nc_u64_e32 v[22:23], v[24:25], v[20:21]
	v_sub_co_u32 v21, s1, 0, v24
	v_mov_b32_e32 v20, -1
	s_xor_b32 s1, s1, -1
	s_delay_alu instid0(VALU_DEP_3) | instskip(SKIP_1) | instid1(SALU_CYCLE_1)
	v_cmp_ne_u32_e64 s0, 0, v22
	s_or_b32 s0, s1, s0
	s_and_saveexec_b32 s1, s0
	s_cbranch_execz .LBB0_71
; %bb.66:
	v_mov_b32_e32 v20, v22
	s_mov_b64 s[10:11], 0xffffffff
	s_mov_b32 s9, exec_lo
	v_cmpx_lt_u64_e64 s[10:11], v[22:23]
	s_cbranch_execz .LBB0_70
; %bb.67:
	v_dual_mov_b32 v21, -1 :: v_dual_mov_b32 v20, v22
	s_mov_b32 s10, exec_lo
	v_cmpx_ne_u32_e32 0, v24
; %bb.68:
	v_not_b32_e32 v21, v24
	v_add_nc_u32_e32 v20, 1, v22
	s_mov_b32 s7, exec_lo
; %bb.69:
	s_or_b32 exec_lo, exec_lo, s10
	s_delay_alu instid0(SALU_CYCLE_1)
	s_and_b32 s7, s7, exec_lo
.LBB0_70:
	s_or_b32 exec_lo, exec_lo, s9
	s_delay_alu instid0(SALU_CYCLE_1)
	s_or_not1_b32 s9, s7, exec_lo
.LBB0_71:
	s_or_b32 exec_lo, exec_lo, s1
	s_and_saveexec_b32 s0, s9
; %bb.72:
	v_mov_b64_e32 v[22:23], v[20:21]
; %bb.73:
	s_or_b32 exec_lo, exec_lo, s0
	v_lshrrev_b32_e32 v23, 28, v19
	v_cmp_ne_u32_e64 s1, 0, v20
	s_delay_alu instid0(VALU_DEP_2) | instskip(SKIP_2) | instid1(SALU_CYCLE_1)
	v_cmp_ge_u32_e64 s0, v21, v23
	v_sub_nc_u32_e32 v23, v21, v23
                                        ; implicit-def: $vgpr20_vgpr21
	s_or_b32 s0, s0, s1
	s_and_saveexec_b32 s1, s0
	s_delay_alu instid0(SALU_CYCLE_1)
	s_xor_b32 s0, exec_lo, s1
; %bb.74:
	v_dual_mov_b32 v20, 0 :: v_dual_mov_b32 v21, v22
; %bb.75:
	s_and_not1_saveexec_b32 s0, s0
; %bb.76:
	v_add_co_u32 v23, s1, v23, 1
	s_delay_alu instid0(VALU_DEP_1)
	v_cndmask_b32_e64 v21, -2, -1, s1
	v_mov_b32_e32 v20, 0
; %bb.77:
	s_or_b32 exec_lo, exec_lo, s0
	s_delay_alu instid0(VALU_DEP_1)
	v_or_b32_e32 v20, v20, v23
.LBB0_78:
	s_or_b32 exec_lo, exec_lo, s6
.LBB0_79:
	s_or_saveexec_b32 s1, s5
	s_mov_b32 s0, 0
	s_xor_b32 exec_lo, exec_lo, s1
; %bb.80:
	v_cmp_eq_u32_e64 s0, 24, v28
	s_delay_alu instid0(VALU_DEP_4)
	v_mov_b64_e32 v[20:21], v[18:19]
	s_and_b32 s0, s0, exec_lo
; %bb.81:
	s_or_b32 exec_lo, exec_lo, s1
	s_delay_alu instid0(SALU_CYCLE_1)
	s_and_b32 s5, s0, exec_lo
	s_and_not1_saveexec_b32 s1, s4
	s_cbranch_execz .LBB0_56
.LBB0_82:
	v_cmp_eq_u32_e64 s0, 12, v28
	s_delay_alu instid0(VALU_DEP_3) | instskip(SKIP_2) | instid1(SALU_CYCLE_1)
	v_mov_b64_e32 v[20:21], v[18:19]
	s_and_not1_b32 s4, s5, exec_lo
	s_and_b32 s0, s0, exec_lo
	s_or_b32 s5, s4, s0
	s_or_b32 exec_lo, exec_lo, s1
	s_and_saveexec_b32 s1, s5
	s_cbranch_execz .LBB0_88
.LBB0_83:
	v_dual_sub_nc_u32 v20, 64, v28 :: v_dual_sub_nc_u32 v21, 32, v28
	s_delay_alu instid0(VALU_DEP_3) | instskip(SKIP_2) | instid1(VALU_DEP_3)
	v_lshlrev_b64_e32 v[28:29], v28, v[18:19]
	v_mov_b64_e32 v[22:23], 0xffffffff00000000
	s_mov_b32 s5, 0
	v_lshrrev_b64 v[26:27], v20, v[18:19]
	v_lshrrev_b64 v[20:21], v21, v[18:19]
	v_mov_b32_e32 v21, 0
	s_mov_b32 s6, -1
	s_delay_alu instid0(VALU_DEP_3) | instskip(NEXT) | instid1(VALU_DEP_2)
	v_sub_co_u32 v18, s4, v28, v26
	v_add_nc_u64_e32 v[24:25], v[20:21], v[26:27]
	s_xor_b32 s4, s4, -1
                                        ; implicit-def: $vgpr20_vgpr21
	s_delay_alu instid0(VALU_DEP_1) | instskip(SKIP_1) | instid1(SALU_CYCLE_1)
	v_cmp_ne_u32_e64 s0, 0, v24
	s_or_b32 s0, s4, s0
	s_and_saveexec_b32 s4, s0
	s_cbranch_execnz .LBB0_118
; %bb.84:
	s_or_b32 exec_lo, exec_lo, s4
	v_mov_b64_e32 v[24:25], 0xffffffff
	s_and_saveexec_b32 s0, s6
	s_cbranch_execnz .LBB0_123
.LBB0_85:
	s_or_b32 exec_lo, exec_lo, s0
	s_and_saveexec_b32 s0, s5
.LBB0_86:
	s_delay_alu instid0(VALU_DEP_1) | instskip(NEXT) | instid1(VALU_DEP_1)
	v_or_b32_e32 v25, v23, v25
	v_mov_b64_e32 v[20:21], v[24:25]
.LBB0_87:
	s_or_b32 exec_lo, exec_lo, s0
.LBB0_88:
	s_delay_alu instid0(SALU_CYCLE_1) | instskip(SKIP_3) | instid1(VALU_DEP_2)
	s_or_b32 exec_lo, exec_lo, s1
	v_sub_nc_u64_e32 v[18:19], v[16:17], v[14:15]
	s_mov_b64 s[0:1], 0xffffffff
	s_mov_b64 s[4:5], 0xffffffff00000001
	v_add_nc_u64_e32 v[22:23], s[0:1], v[20:21]
	v_cmp_lt_u64_e64 s0, s[4:5], v[20:21]
	v_cmp_lt_u64_e64 s1, v[16:17], v[14:15]
	s_delay_alu instid0(VALU_DEP_4) | instskip(NEXT) | instid1(VALU_DEP_3)
	v_add_nc_u64_e32 v[24:25], 0xffffffff00000001, v[18:19]
	v_dual_cndmask_b32 v17, v21, v23, s0 :: v_dual_cndmask_b32 v16, v20, v22, s0
	s_delay_alu instid0(VALU_DEP_2)
	v_dual_cndmask_b32 v15, v19, v25, s1 :: v_dual_cndmask_b32 v14, v18, v24, s1
	ds_store_b64 v1, v[16:17] offset:24
	s_and_saveexec_b32 s1, vcc_lo
	s_cbranch_execz .LBB0_102
; %bb.89:
	v_mul_u32_u24_e32 v19, 12, v32
	v_mad_u32_u24 v16, v32, 12, 0xffffffe0
	s_mov_b32 s4, 0
	s_mov_b32 s5, -1
	s_delay_alu instid0(VALU_DEP_2) | instskip(NEXT) | instid1(VALU_DEP_2)
	v_sub_nc_u32_e32 v18, 64, v19
	v_lshlrev_b64_e32 v[16:17], v16, v[14:15]
	v_mov_b32_e32 v17, 0
	s_delay_alu instid0(VALU_DEP_3) | instskip(NEXT) | instid1(VALU_DEP_2)
	v_lshrrev_b64 v[20:21], v18, v[14:15]
	v_dual_mov_b32 v18, -1 :: v_dual_mov_b32 v21, v17
	s_delay_alu instid0(VALU_DEP_1) | instskip(SKIP_4) | instid1(SALU_CYCLE_1)
	v_add_nc_u64_e32 v[16:17], v[20:21], v[16:17]
	v_sub_co_u32 v21, s0, 0, v20
	s_xor_b32 s0, s0, -1
	v_cmp_ne_u32_e32 vcc_lo, 0, v16
	s_or_b32 s6, s0, vcc_lo
	s_and_saveexec_b32 s0, s6
	s_cbranch_execz .LBB0_95
; %bb.90:
	v_mov_b32_e32 v18, v16
	s_mov_b64 s[6:7], 0xffffffff
	s_mov_b32 s5, exec_lo
	v_cmpx_lt_u64_e64 s[6:7], v[16:17]
	s_cbranch_execz .LBB0_94
; %bb.91:
	v_dual_mov_b32 v21, -1 :: v_dual_mov_b32 v18, v16
	s_mov_b32 s6, exec_lo
	v_cmpx_ne_u32_e32 0, v20
; %bb.92:
	v_not_b32_e32 v21, v20
	v_add_nc_u32_e32 v18, 1, v16
	s_mov_b32 s4, exec_lo
; %bb.93:
	s_or_b32 exec_lo, exec_lo, s6
	s_delay_alu instid0(SALU_CYCLE_1)
	s_and_b32 s4, s4, exec_lo
.LBB0_94:
	s_or_b32 exec_lo, exec_lo, s5
	s_delay_alu instid0(SALU_CYCLE_1)
	s_or_not1_b32 s5, s4, exec_lo
.LBB0_95:
	s_or_b32 exec_lo, exec_lo, s0
	s_and_saveexec_b32 s0, s5
; %bb.96:
	v_mov_b64_e32 v[16:17], v[18:19]
; %bb.97:
	s_or_b32 exec_lo, exec_lo, s0
	v_sub_nc_u32_e32 v17, 0x60, v19
	v_cmp_ne_u32_e64 s0, 0, v18
	s_delay_alu instid0(VALU_DEP_2) | instskip(NEXT) | instid1(VALU_DEP_1)
	v_lshrrev_b64 v[14:15], v17, v[14:15]
	v_cmp_ge_u32_e32 vcc_lo, v21, v14
	v_sub_nc_u32_e32 v17, v21, v14
                                        ; implicit-def: $vgpr14_vgpr15
	s_or_b32 s0, vcc_lo, s0
	s_delay_alu instid0(SALU_CYCLE_1) | instskip(NEXT) | instid1(SALU_CYCLE_1)
	s_and_saveexec_b32 s4, s0
	s_xor_b32 s0, exec_lo, s4
; %bb.98:
	v_dual_mov_b32 v14, 0 :: v_dual_mov_b32 v15, v16
; %bb.99:
	s_and_not1_saveexec_b32 s0, s0
; %bb.100:
	v_add_co_u32 v17, s4, v17, 1
	s_delay_alu instid0(VALU_DEP_1)
	v_cndmask_b32_e64 v15, -2, -1, s4
	v_mov_b32_e32 v14, 0
; %bb.101:
	s_or_b32 exec_lo, exec_lo, s0
	s_delay_alu instid0(VALU_DEP_1)
	v_or_b32_e32 v14, v14, v17
.LBB0_102:
	s_or_b32 exec_lo, exec_lo, s1
	s_mov_b64 s[0:1], 0xffffffff
	s_mov_b64 s[4:5], 0xffffffff00000001
	s_delay_alu instid0(VALU_DEP_1) | instskip(SKIP_2) | instid1(VALU_DEP_2)
	v_add_nc_u64_e32 v[16:17], s[0:1], v[14:15]
	v_cmp_lt_u64_e32 vcc_lo, s[4:5], v[14:15]
	s_mov_b32 s0, exec_lo
	v_dual_cndmask_b32 v15, v15, v17 :: v_dual_cndmask_b32 v14, v14, v16
	v_sub_nc_u64_e32 v[16:17], v[10:11], v[12:13]
	v_cmp_lt_u64_e32 vcc_lo, v[10:11], v[12:13]
	ds_store_b64 v1, v[14:15] offset:32
	v_mul_u32_u24_e32 v15, 15, v32
	v_add_nc_u64_e32 v[18:19], 0xffffffff00000001, v[16:17]
	s_delay_alu instid0(VALU_DEP_1) | instskip(NEXT) | instid1(VALU_DEP_3)
	v_dual_cndmask_b32 v11, v17, v19 :: v_dual_cndmask_b32 v10, v16, v18
	v_cmpx_lt_i32_e32 35, v15
	s_xor_b32 s1, exec_lo, s0
	s_cbranch_execz .LBB0_144
; %bb.103:
	s_mov_b32 s5, 0
	s_mov_b32 s0, exec_lo
	v_cmpx_lt_i32_e32 47, v15
	s_xor_b32 s0, exec_lo, s0
	s_cbranch_execnz .LBB0_124
; %bb.104:
	s_and_not1_saveexec_b32 s0, s0
	s_cbranch_execnz .LBB0_129
.LBB0_105:
	s_or_b32 exec_lo, exec_lo, s0
	s_and_saveexec_b32 s4, s5
	s_cbranch_execnz .LBB0_130
	s_branch .LBB0_143
.LBB0_106:
	s_mov_b64 s[10:11], 0xffffffff
	v_mov_b64_e32 v[26:27], 0xffffffff00000000
	v_cmp_lt_u64_e64 s2, s[10:11], v[28:29]
	v_mov_b32_e32 v25, v28
	s_mov_b32 s9, 0
	s_mov_b32 s10, 0
                                        ; implicit-def: $vgpr26
	s_and_saveexec_b32 s7, s2
	s_cbranch_execz .LBB0_110
; %bb.107:
	v_mov_b64_e32 v[26:27], v[24:25]
	s_mov_b32 s10, -1
	s_mov_b32 s11, exec_lo
                                        ; implicit-def: $vgpr26
	v_cmpx_ne_u32_e64 v31, v30
; %bb.108:
	v_add_nc_u32_e32 v26, -1, v24
	v_add_nc_u32_e32 v27, 1, v28
	s_mov_b32 s9, exec_lo
	s_xor_b32 s10, exec_lo, -1
; %bb.109:
	s_or_b32 exec_lo, exec_lo, s11
	s_delay_alu instid0(SALU_CYCLE_1)
	s_and_b32 s10, s10, exec_lo
	s_and_b32 s9, s9, exec_lo
.LBB0_110:
	s_or_b32 exec_lo, exec_lo, s7
	v_mov_b64_e32 v[22:23], v[24:25]
	v_mov_b32_e32 v24, v26
	s_and_b32 s7, s10, exec_lo
	s_or_not1_b32 s9, s9, exec_lo
	s_or_b32 exec_lo, exec_lo, s6
	v_mov_b64_e32 v[28:29], 0xffffffff
	s_and_saveexec_b32 s2, s9
	s_cbranch_execz .LBB0_45
.LBB0_111:
	v_mov_b32_e32 v25, 0
	s_or_b32 s7, s7, exec_lo
	s_delay_alu instid0(VALU_DEP_1)
	v_mov_b64_e32 v[28:29], v[24:25]
	s_or_b32 exec_lo, exec_lo, s2
	s_and_saveexec_b32 s2, s7
	s_cbranch_execnz .LBB0_46
	s_branch .LBB0_47
.LBB0_112:
	s_mov_b64 s[10:11], 0xffffffff
	v_mov_b64_e32 v[22:23], 0xffffffff00000000
	v_cmp_lt_u64_e64 s0, s[10:11], v[26:27]
	v_mov_b32_e32 v21, v26
	s_mov_b32 s9, 0
	s_mov_b32 s10, 0
                                        ; implicit-def: $vgpr22
	s_and_saveexec_b32 s5, s0
	s_cbranch_execz .LBB0_116
; %bb.113:
	v_mov_b64_e32 v[22:23], v[20:21]
	s_mov_b32 s10, -1
	s_mov_b32 s11, exec_lo
                                        ; implicit-def: $vgpr22
	v_cmpx_ne_u32_e64 v30, v28
; %bb.114:
	v_dual_add_nc_u32 v22, -1, v20 :: v_dual_add_nc_u32 v23, 1, v26
	s_mov_b32 s9, exec_lo
	s_xor_b32 s10, exec_lo, -1
; %bb.115:
	s_or_b32 exec_lo, exec_lo, s11
	s_delay_alu instid0(SALU_CYCLE_1)
	s_and_b32 s10, s10, exec_lo
	s_and_b32 s9, s9, exec_lo
.LBB0_116:
	s_or_b32 exec_lo, exec_lo, s5
	v_mov_b64_e32 v[24:25], v[20:21]
	v_mov_b32_e32 v20, v22
	s_and_b32 s5, s10, exec_lo
	s_or_not1_b32 s9, s9, exec_lo
	s_or_b32 exec_lo, exec_lo, s4
	v_mov_b64_e32 v[26:27], 0xffffffff
	s_and_saveexec_b32 s0, s9
	s_cbranch_execz .LBB0_51
.LBB0_117:
	v_mov_b32_e32 v21, 0
	s_or_b32 s5, s5, exec_lo
	s_delay_alu instid0(VALU_DEP_1)
	v_mov_b64_e32 v[26:27], v[20:21]
	s_or_b32 exec_lo, exec_lo, s0
	s_and_saveexec_b32 s0, s5
	s_cbranch_execnz .LBB0_52
	s_branch .LBB0_53
.LBB0_118:
	s_mov_b64 s[6:7], 0xffffffff
	v_mov_b64_e32 v[22:23], 0xffffffff00000000
	v_cmp_lt_u64_e64 s0, s[6:7], v[24:25]
	v_mov_b32_e32 v19, v24
	s_mov_b32 s6, 0
	s_mov_b32 s7, 0
                                        ; implicit-def: $vgpr22
	s_and_saveexec_b32 s5, s0
	s_cbranch_execz .LBB0_122
; %bb.119:
	v_mov_b64_e32 v[22:23], v[18:19]
	s_mov_b32 s7, -1
	s_mov_b32 s9, exec_lo
                                        ; implicit-def: $vgpr22
	v_cmpx_ne_u32_e64 v28, v26
; %bb.120:
	v_dual_add_nc_u32 v22, -1, v18 :: v_dual_add_nc_u32 v23, 1, v24
	s_mov_b32 s6, exec_lo
	s_xor_b32 s7, exec_lo, -1
; %bb.121:
	s_or_b32 exec_lo, exec_lo, s9
	s_delay_alu instid0(SALU_CYCLE_1)
	s_and_b32 s7, s7, exec_lo
	s_and_b32 s6, s6, exec_lo
.LBB0_122:
	s_or_b32 exec_lo, exec_lo, s5
	v_mov_b64_e32 v[20:21], v[18:19]
	v_mov_b32_e32 v18, v22
	s_and_b32 s5, s7, exec_lo
	s_or_not1_b32 s6, s6, exec_lo
	s_or_b32 exec_lo, exec_lo, s4
	v_mov_b64_e32 v[24:25], 0xffffffff
	s_and_saveexec_b32 s0, s6
	s_cbranch_execz .LBB0_85
.LBB0_123:
	v_mov_b32_e32 v19, 0
	s_or_b32 s5, s5, exec_lo
	s_delay_alu instid0(VALU_DEP_1)
	v_mov_b64_e32 v[24:25], v[18:19]
	s_or_b32 exec_lo, exec_lo, s0
	s_and_saveexec_b32 s0, s5
	s_cbranch_execnz .LBB0_86
	s_branch .LBB0_87
.LBB0_124:
	s_mov_b32 s4, 0
	s_mov_b32 s5, exec_lo
	v_cmpx_lt_i32_e32 59, v15
	s_xor_b32 s5, exec_lo, s5
; %bb.125:
	v_cmp_eq_u32_e32 vcc_lo, 60, v15
	s_and_b32 s4, vcc_lo, exec_lo
; %bb.126:
	s_and_not1_saveexec_b32 s5, s5
; %bb.127:
	v_cmp_eq_u32_e32 vcc_lo, 48, v15
	s_and_not1_b32 s4, s4, exec_lo
	s_and_b32 s6, vcc_lo, exec_lo
	s_delay_alu instid0(SALU_CYCLE_1)
	s_or_b32 s4, s4, s6
; %bb.128:
	s_or_b32 exec_lo, exec_lo, s5
	s_delay_alu instid0(SALU_CYCLE_1)
	s_and_b32 s5, s4, exec_lo
	s_and_not1_saveexec_b32 s0, s0
	s_cbranch_execz .LBB0_105
.LBB0_129:
	v_cmp_eq_u32_e32 vcc_lo, 36, v15
	s_and_not1_b32 s4, s5, exec_lo
	s_and_b32 s5, vcc_lo, exec_lo
	s_delay_alu instid0(SALU_CYCLE_1)
	s_or_b32 s5, s4, s5
	s_or_b32 exec_lo, exec_lo, s0
	s_and_saveexec_b32 s4, s5
	s_cbranch_execz .LBB0_143
.LBB0_130:
	v_subrev_nc_u32_e32 v12, 32, v15
	v_sub_nc_u32_e32 v14, 64, v15
	s_mov_b32 s5, 0
	s_mov_b32 s6, -1
	s_delay_alu instid0(VALU_DEP_2) | instskip(SKIP_2) | instid1(VALU_DEP_2)
	v_lshlrev_b64_e32 v[12:13], v12, v[10:11]
	v_mov_b32_e32 v13, 0
	v_lshrrev_b64 v[16:17], v14, v[10:11]
	v_dual_mov_b32 v14, -1 :: v_dual_mov_b32 v17, v13
	s_delay_alu instid0(VALU_DEP_1) | instskip(SKIP_4) | instid1(SALU_CYCLE_1)
	v_add_nc_u64_e32 v[12:13], v[16:17], v[12:13]
	v_sub_co_u32 v17, s0, 0, v16
	s_xor_b32 s0, s0, -1
	v_cmp_ne_u32_e32 vcc_lo, 0, v12
	s_or_b32 s7, s0, vcc_lo
	s_and_saveexec_b32 s0, s7
	s_cbranch_execz .LBB0_136
; %bb.131:
	s_mov_b64 s[6:7], 0xffffffff
	v_mov_b32_e32 v14, v12
	v_cmp_lt_u64_e32 vcc_lo, s[6:7], v[12:13]
	s_and_saveexec_b32 s6, vcc_lo
	s_cbranch_execz .LBB0_135
; %bb.132:
	v_dual_mov_b32 v17, -1 :: v_dual_mov_b32 v14, v12
	s_mov_b32 s7, exec_lo
	v_cmpx_ne_u32_e32 0, v16
; %bb.133:
	v_not_b32_e32 v17, v16
	v_add_nc_u32_e32 v14, 1, v12
	s_mov_b32 s5, exec_lo
; %bb.134:
	s_or_b32 exec_lo, exec_lo, s7
	s_delay_alu instid0(SALU_CYCLE_1)
	s_and_b32 s5, s5, exec_lo
.LBB0_135:
	s_or_b32 exec_lo, exec_lo, s6
	s_delay_alu instid0(SALU_CYCLE_1)
	s_or_not1_b32 s6, s5, exec_lo
.LBB0_136:
	s_or_b32 exec_lo, exec_lo, s0
	s_and_saveexec_b32 s0, s6
; %bb.137:
	v_mov_b64_e32 v[12:13], v[14:15]
; %bb.138:
	s_or_b32 exec_lo, exec_lo, s0
	v_sub_nc_u32_e32 v13, 0x60, v15
	v_cmp_ne_u32_e64 s0, 0, v14
	s_delay_alu instid0(VALU_DEP_2) | instskip(NEXT) | instid1(VALU_DEP_1)
	v_lshrrev_b64 v[10:11], v13, v[10:11]
	v_cmp_ge_u32_e32 vcc_lo, v17, v10
	v_sub_nc_u32_e32 v13, v17, v10
                                        ; implicit-def: $vgpr10_vgpr11
	s_or_b32 s0, vcc_lo, s0
	s_delay_alu instid0(SALU_CYCLE_1) | instskip(NEXT) | instid1(SALU_CYCLE_1)
	s_and_saveexec_b32 s5, s0
	s_xor_b32 s0, exec_lo, s5
; %bb.139:
	v_dual_mov_b32 v10, 0 :: v_dual_mov_b32 v11, v12
; %bb.140:
	s_and_not1_saveexec_b32 s0, s0
; %bb.141:
	v_add_co_u32 v13, s5, v13, 1
	s_delay_alu instid0(VALU_DEP_1)
	v_cndmask_b32_e64 v11, -2, -1, s5
	v_mov_b32_e32 v10, 0
; %bb.142:
	s_or_b32 exec_lo, exec_lo, s0
	s_delay_alu instid0(VALU_DEP_1)
	v_or_b32_e32 v10, v10, v13
.LBB0_143:
	s_or_b32 exec_lo, exec_lo, s4
                                        ; implicit-def: $vgpr15
.LBB0_144:
	s_and_not1_saveexec_b32 s0, s1
	s_cbranch_execz .LBB0_156
; %bb.145:
	s_mov_b32 s4, 0
	s_mov_b32 s1, exec_lo
	v_cmpx_lt_i32_e32 23, v15
	s_xor_b32 s1, exec_lo, s1
	s_cbranch_execnz .LBB0_148
; %bb.146:
	s_and_not1_saveexec_b32 s1, s1
	s_cbranch_execnz .LBB0_149
.LBB0_147:
	s_or_b32 exec_lo, exec_lo, s1
	s_and_saveexec_b32 s1, s4
	s_cbranch_execnz .LBB0_150
	s_branch .LBB0_155
.LBB0_148:
	v_cmp_eq_u32_e32 vcc_lo, 24, v15
	s_and_b32 s4, vcc_lo, exec_lo
	s_and_not1_saveexec_b32 s1, s1
	s_cbranch_execz .LBB0_147
.LBB0_149:
	v_cmp_eq_u32_e32 vcc_lo, 12, v15
	s_and_not1_b32 s4, s4, exec_lo
	s_and_b32 s5, vcc_lo, exec_lo
	s_delay_alu instid0(SALU_CYCLE_1)
	s_or_b32 s4, s4, s5
	s_or_b32 exec_lo, exec_lo, s1
	s_and_saveexec_b32 s1, s4
	s_cbranch_execz .LBB0_155
.LBB0_150:
	v_dual_sub_nc_u32 v12, 64, v15 :: v_dual_sub_nc_u32 v13, 32, v15
	v_lshlrev_b64_e32 v[20:21], v15, v[10:11]
	v_mov_b64_e32 v[14:15], 0xffffffff00000000
	s_mov_b32 s5, 0
	s_delay_alu instid0(VALU_DEP_3) | instskip(SKIP_3) | instid1(VALU_DEP_1)
	v_lshrrev_b64 v[18:19], v12, v[10:11]
	v_lshrrev_b64 v[12:13], v13, v[10:11]
	v_mov_b32_e32 v13, 0
	s_mov_b32 s6, -1
                                        ; implicit-def: $vgpr10_vgpr11
	v_add_nc_u64_e32 v[16:17], v[12:13], v[18:19]
	v_sub_co_u32 v12, s4, v20, v18
	s_xor_b32 s4, s4, -1
	v_cmp_ne_u32_e32 vcc_lo, 0, v16
	s_or_b32 s7, s4, vcc_lo
	s_delay_alu instid0(SALU_CYCLE_1)
	s_and_saveexec_b32 s4, s7
	s_cbranch_execnz .LBB0_195
; %bb.151:
	s_or_b32 exec_lo, exec_lo, s4
	v_mov_b64_e32 v[16:17], 0xffffffff
	s_and_saveexec_b32 s4, s6
	s_cbranch_execnz .LBB0_200
.LBB0_152:
	s_or_b32 exec_lo, exec_lo, s4
	s_and_saveexec_b32 s4, s5
.LBB0_153:
	s_delay_alu instid0(VALU_DEP_1) | instskip(NEXT) | instid1(VALU_DEP_1)
	v_or_b32_e32 v17, v15, v17
	v_mov_b64_e32 v[10:11], v[16:17]
.LBB0_154:
	s_or_b32 exec_lo, exec_lo, s4
.LBB0_155:
	s_delay_alu instid0(SALU_CYCLE_1)
	s_or_b32 exec_lo, exec_lo, s1
.LBB0_156:
	s_delay_alu instid0(SALU_CYCLE_1) | instskip(SKIP_2) | instid1(VALU_DEP_1)
	s_or_b32 exec_lo, exec_lo, s0
	s_mov_b64 s[0:1], 0xffffffff
	s_mov_b64 s[4:5], 0xffffffff00000001
	v_add_nc_u64_e32 v[12:13], s[0:1], v[10:11]
	v_cmp_lt_u64_e32 vcc_lo, s[4:5], v[10:11]
	s_mov_b32 s0, exec_lo
	s_delay_alu instid0(VALU_DEP_2) | instskip(SKIP_4) | instid1(VALU_DEP_2)
	v_dual_cndmask_b32 v11, v11, v13 :: v_dual_cndmask_b32 v10, v10, v12
	v_cmp_lt_u64_e32 vcc_lo, v[8:9], v[6:7]
	ds_store_b64 v1, v[10:11] offset:40
	v_sub_nc_u64_e32 v[10:11], v[8:9], v[6:7]
	v_mul_u32_u24_e32 v8, 18, v32
	v_add_nc_u64_e32 v[12:13], 0xffffffff00000001, v[10:11]
	s_delay_alu instid0(VALU_DEP_1) | instskip(NEXT) | instid1(VALU_DEP_3)
	v_dual_cndmask_b32 v7, v11, v13 :: v_dual_cndmask_b32 v6, v10, v12
	v_cmpx_lt_i32_e32 47, v8
	s_xor_b32 s1, exec_lo, s0
	s_cbranch_execz .LBB0_180
; %bb.157:
	s_mov_b32 s0, exec_lo
	v_cmpx_lt_i32_e32 0x47, v8
	s_xor_b32 s4, exec_lo, s0
	s_cbranch_execz .LBB0_163
; %bb.158:
	s_mov_b32 s5, exec_lo
	v_cmpx_eq_u32_e32 0x48, v8
	s_cbranch_execz .LBB0_162
; %bb.159:
	v_lshlrev_b32_e32 v8, 8, v6
	v_alignbit_b32 v6, v7, v6, 24
	s_delay_alu instid0(VALU_DEP_2) | instskip(SKIP_1) | instid1(VALU_DEP_2)
	v_dual_lshrrev_b32 v7, 24, v7 :: v_dual_sub_nc_u32 v9, 0, v8
	v_cmp_eq_u32_e32 vcc_lo, 0, v8
	v_sub_co_u32 v6, s6, v9, v6
	s_and_b32 vcc_lo, s6, vcc_lo
	v_cmp_eq_u32_e64 s0, -1, v6
	v_add_co_ci_u32_e64 v6, null, 0, v6, vcc_lo
	s_delay_alu instid0(VALU_DEP_2) | instskip(NEXT) | instid1(VALU_DEP_1)
	v_cndmask_b32_e64 v9, -2, -1, s0
	v_cndmask_b32_e32 v8, v8, v9, vcc_lo
	s_delay_alu instid0(VALU_DEP_1)
	v_sub_co_u32 v7, s6, v8, v7
	s_and_saveexec_b32 s0, s6
; %bb.160:
	v_add_nc_u32_e32 v8, -1, v7
	v_add_co_u32 v6, vcc_lo, v6, 1
	s_delay_alu instid0(VALU_DEP_2)
	v_cndmask_b32_e32 v7, v8, v7, vcc_lo
; %bb.161:
	s_or_b32 exec_lo, exec_lo, s0
.LBB0_162:
	s_delay_alu instid0(SALU_CYCLE_1)
	s_or_b32 exec_lo, exec_lo, s5
                                        ; implicit-def: $vgpr8
.LBB0_163:
	s_and_not1_saveexec_b32 s4, s4
	s_cbranch_execz .LBB0_179
; %bb.164:
	s_mov_b32 s5, exec_lo
	v_cmpx_eq_u32_e32 48, v8
	s_cbranch_execz .LBB0_178
; %bb.165:
	v_dual_mov_b32 v9, 0 :: v_dual_lshlrev_b32 v8, 16, v6
	v_alignbit_b32 v10, v7, v6, 16
	s_mov_b32 s6, 0
	s_mov_b32 s7, -1
	s_delay_alu instid0(VALU_DEP_2) | instskip(NEXT) | instid1(VALU_DEP_1)
	v_dual_mov_b32 v11, v9 :: v_dual_mov_b32 v6, -1
	v_add_nc_u64_e32 v[8:9], v[10:11], v[8:9]
	v_sub_co_u32 v11, s0, 0, v10
	s_xor_b32 s0, s0, -1
	v_cmp_ne_u32_e32 vcc_lo, 0, v8
	s_or_b32 s9, s0, vcc_lo
	s_delay_alu instid0(SALU_CYCLE_1)
	s_and_saveexec_b32 s0, s9
	s_cbranch_execz .LBB0_171
; %bb.166:
	v_mov_b32_e32 v6, v8
	s_mov_b64 s[10:11], 0xffffffff
	s_mov_b32 s7, exec_lo
	v_cmpx_lt_u64_e64 s[10:11], v[8:9]
	s_cbranch_execz .LBB0_170
; %bb.167:
	v_dual_mov_b32 v11, -1 :: v_dual_mov_b32 v6, v8
	s_mov_b32 s9, exec_lo
	v_cmpx_ne_u32_e32 0, v10
; %bb.168:
	v_not_b32_e32 v11, v10
	v_add_nc_u32_e32 v6, 1, v8
	s_mov_b32 s6, exec_lo
; %bb.169:
	s_or_b32 exec_lo, exec_lo, s9
	s_delay_alu instid0(SALU_CYCLE_1)
	s_and_b32 s6, s6, exec_lo
.LBB0_170:
	s_or_b32 exec_lo, exec_lo, s7
	s_delay_alu instid0(SALU_CYCLE_1)
	s_or_not1_b32 s7, s6, exec_lo
.LBB0_171:
	s_or_b32 exec_lo, exec_lo, s0
	s_and_saveexec_b32 s0, s7
; %bb.172:
	v_mov_b64_e32 v[8:9], v[6:7]
; %bb.173:
	s_or_b32 exec_lo, exec_lo, s0
	v_lshrrev_b32_e32 v7, 16, v7
	v_cmp_ne_u32_e64 s0, 0, v6
	s_delay_alu instid0(VALU_DEP_2) | instskip(SKIP_2) | instid1(SALU_CYCLE_1)
	v_cmp_ge_u32_e32 vcc_lo, v11, v7
	v_sub_nc_u32_e32 v9, v11, v7
                                        ; implicit-def: $vgpr6_vgpr7
	s_or_b32 s0, vcc_lo, s0
	s_and_saveexec_b32 s6, s0
	s_delay_alu instid0(SALU_CYCLE_1)
	s_xor_b32 s0, exec_lo, s6
; %bb.174:
	v_dual_mov_b32 v6, 0 :: v_dual_mov_b32 v7, v8
; %bb.175:
	s_and_not1_saveexec_b32 s0, s0
; %bb.176:
	v_add_co_u32 v9, s6, v9, 1
	s_delay_alu instid0(VALU_DEP_1)
	v_cndmask_b32_e64 v7, -2, -1, s6
	v_mov_b32_e32 v6, 0
; %bb.177:
	s_or_b32 exec_lo, exec_lo, s0
	s_delay_alu instid0(VALU_DEP_1)
	v_or_b32_e32 v6, v6, v9
.LBB0_178:
	s_or_b32 exec_lo, exec_lo, s5
.LBB0_179:
	s_delay_alu instid0(SALU_CYCLE_1)
	s_or_b32 exec_lo, exec_lo, s4
                                        ; implicit-def: $vgpr8
.LBB0_180:
	s_and_not1_saveexec_b32 s0, s1
	s_cbranch_execz .LBB0_188
; %bb.181:
	s_mov_b32 s1, exec_lo
	v_cmpx_eq_u32_e32 24, v8
	s_cbranch_execz .LBB0_187
; %bb.182:
	v_dual_mov_b32 v15, 0 :: v_dual_lshrrev_b32 v14, 8, v7
	v_alignbit_b32 v8, v7, v6, 8
	v_mov_b64_e32 v[10:11], 0xffffffff00000000
	s_mov_b32 s5, 0
	s_delay_alu instid0(VALU_DEP_3) | instskip(SKIP_1) | instid1(VALU_DEP_1)
	v_mov_b32_e32 v9, v15
	s_mov_b32 s6, -1
	v_add_nc_u64_e32 v[12:13], v[8:9], v[14:15]
	v_lshlrev_b32_e32 v15, 24, v6
                                        ; implicit-def: $vgpr6_vgpr7
	s_delay_alu instid0(VALU_DEP_1) | instskip(NEXT) | instid1(VALU_DEP_3)
	v_sub_co_u32 v8, s4, v15, v14
	v_cmp_ne_u32_e32 vcc_lo, 0, v12
	s_xor_b32 s4, s4, -1
	s_delay_alu instid0(SALU_CYCLE_1) | instskip(NEXT) | instid1(SALU_CYCLE_1)
	s_or_b32 s7, s4, vcc_lo
	s_and_saveexec_b32 s4, s7
	s_cbranch_execnz .LBB0_201
; %bb.183:
	s_or_b32 exec_lo, exec_lo, s4
	v_mov_b64_e32 v[12:13], 0xffffffff
	s_and_saveexec_b32 s4, s6
	s_cbranch_execnz .LBB0_206
.LBB0_184:
	s_or_b32 exec_lo, exec_lo, s4
	s_and_saveexec_b32 s4, s5
.LBB0_185:
	s_delay_alu instid0(VALU_DEP_1) | instskip(NEXT) | instid1(VALU_DEP_1)
	v_or_b32_e32 v13, v11, v13
	v_mov_b64_e32 v[6:7], v[12:13]
.LBB0_186:
	s_or_b32 exec_lo, exec_lo, s4
.LBB0_187:
	s_delay_alu instid0(SALU_CYCLE_1)
	s_or_b32 exec_lo, exec_lo, s1
.LBB0_188:
	s_delay_alu instid0(SALU_CYCLE_1) | instskip(SKIP_2) | instid1(VALU_DEP_1)
	s_or_b32 exec_lo, exec_lo, s0
	s_mov_b64 s[0:1], 0xffffffff
	s_mov_b64 s[4:5], 0xffffffff00000001
	v_add_nc_u64_e32 v[8:9], s[0:1], v[6:7]
	v_cmp_lt_u64_e32 vcc_lo, s[4:5], v[6:7]
	v_mul_u32_u24_e32 v12, 21, v32
	s_mov_b32 s1, 0
	s_mov_b32 s0, 0
	s_mov_b32 s4, exec_lo
	s_delay_alu instid0(VALU_DEP_3) | instskip(SKIP_3) | instid1(VALU_DEP_1)
	v_dual_cndmask_b32 v7, v7, v9 :: v_dual_cndmask_b32 v6, v6, v8
	v_cmp_lt_u64_e32 vcc_lo, v[4:5], v[2:3]
	ds_store_b64 v1, v[6:7] offset:48
	v_sub_nc_u64_e32 v[6:7], v[4:5], v[2:3]
                                        ; implicit-def: $vgpr4_vgpr5
	v_add_nc_u64_e32 v[8:9], 0xffffffff00000001, v[6:7]
	s_delay_alu instid0(VALU_DEP_1)
	v_dual_cndmask_b32 v3, v7, v9 :: v_dual_cndmask_b32 v2, v6, v8
	v_cmpx_lt_i32_e32 47, v12
	s_xor_b32 s4, exec_lo, s4
	s_cbranch_execnz .LBB0_191
; %bb.189:
	s_or_saveexec_b32 s5, s4
	s_mov_b32 s4, 0
	s_xor_b32 exec_lo, exec_lo, s5
	s_cbranch_execnz .LBB0_220
.LBB0_190:
	s_or_b32 exec_lo, exec_lo, s5
	v_sub_nc_u32_e32 v10, 64, v12
	s_and_saveexec_b32 s5, s0
	s_cbranch_execnz .LBB0_225
	s_branch .LBB0_238
.LBB0_191:
                                        ; implicit-def: $vgpr4_vgpr5
	s_mov_b32 s0, exec_lo
	v_cmpx_lt_i32_e32 0x47, v12
	s_xor_b32 s5, exec_lo, s0
	s_cbranch_execz .LBB0_213
; %bb.192:
	s_mov_b32 s0, 0
	s_mov_b32 s6, exec_lo
	v_cmpx_lt_i32_e32 0x53, v12
	s_xor_b32 s6, exec_lo, s6
	s_cbranch_execnz .LBB0_207
; %bb.193:
	s_and_not1_saveexec_b32 s6, s6
	s_cbranch_execnz .LBB0_208
.LBB0_194:
	s_or_b32 exec_lo, exec_lo, s6
	v_mov_b64_e32 v[4:5], v[2:3]
	s_and_saveexec_b32 s6, s0
	s_cbranch_execnz .LBB0_209
	s_branch .LBB0_212
.LBB0_195:
	s_mov_b64 s[6:7], 0xffffffff
	v_mov_b64_e32 v[14:15], 0xffffffff00000000
	v_cmp_lt_u64_e32 vcc_lo, s[6:7], v[16:17]
	v_mov_b32_e32 v13, v16
	s_mov_b32 s6, 0
	s_mov_b32 s7, 0
                                        ; implicit-def: $vgpr14
	s_and_saveexec_b32 s5, vcc_lo
	s_cbranch_execz .LBB0_199
; %bb.196:
	v_mov_b64_e32 v[14:15], v[12:13]
	s_mov_b32 s7, -1
	s_mov_b32 s9, exec_lo
                                        ; implicit-def: $vgpr14
	v_cmpx_ne_u32_e64 v20, v18
; %bb.197:
	v_add_nc_u32_e32 v14, -1, v12
	v_add_nc_u32_e32 v15, 1, v16
	s_mov_b32 s6, exec_lo
	s_xor_b32 s7, exec_lo, -1
; %bb.198:
	s_or_b32 exec_lo, exec_lo, s9
	s_delay_alu instid0(SALU_CYCLE_1)
	s_and_b32 s7, s7, exec_lo
	s_and_b32 s6, s6, exec_lo
.LBB0_199:
	s_or_b32 exec_lo, exec_lo, s5
	v_mov_b64_e32 v[10:11], v[12:13]
	v_mov_b32_e32 v12, v14
	s_and_b32 s5, s7, exec_lo
	s_or_not1_b32 s6, s6, exec_lo
	s_or_b32 exec_lo, exec_lo, s4
	v_mov_b64_e32 v[16:17], 0xffffffff
	s_and_saveexec_b32 s4, s6
	s_cbranch_execz .LBB0_152
.LBB0_200:
	v_mov_b32_e32 v13, 0
	s_or_b32 s5, s5, exec_lo
	s_delay_alu instid0(VALU_DEP_1)
	v_mov_b64_e32 v[16:17], v[12:13]
	s_or_b32 exec_lo, exec_lo, s4
	s_and_saveexec_b32 s4, s5
	s_cbranch_execnz .LBB0_153
	s_branch .LBB0_154
.LBB0_201:
	s_mov_b64 s[6:7], 0xffffffff
	v_mov_b64_e32 v[10:11], 0xffffffff00000000
	v_cmp_lt_u64_e32 vcc_lo, s[6:7], v[12:13]
	v_mov_b32_e32 v9, v12
	s_mov_b32 s6, 0
	s_mov_b32 s7, 0
                                        ; implicit-def: $vgpr10
	s_and_saveexec_b32 s5, vcc_lo
	s_cbranch_execz .LBB0_205
; %bb.202:
	v_mov_b64_e32 v[10:11], v[8:9]
	s_mov_b32 s7, -1
	s_mov_b32 s9, exec_lo
                                        ; implicit-def: $vgpr10
	v_cmpx_ne_u32_e64 v15, v14
; %bb.203:
	v_add_nc_u32_e32 v10, -1, v8
	v_add_nc_u32_e32 v11, 1, v12
	s_mov_b32 s6, exec_lo
	s_xor_b32 s7, exec_lo, -1
; %bb.204:
	s_or_b32 exec_lo, exec_lo, s9
	s_delay_alu instid0(SALU_CYCLE_1)
	s_and_b32 s7, s7, exec_lo
	s_and_b32 s6, s6, exec_lo
.LBB0_205:
	s_or_b32 exec_lo, exec_lo, s5
	v_mov_b64_e32 v[6:7], v[8:9]
	v_mov_b32_e32 v8, v10
	s_and_b32 s5, s7, exec_lo
	s_or_not1_b32 s6, s6, exec_lo
	s_or_b32 exec_lo, exec_lo, s4
	v_mov_b64_e32 v[12:13], 0xffffffff
	s_and_saveexec_b32 s4, s6
	s_cbranch_execz .LBB0_184
.LBB0_206:
	v_mov_b32_e32 v9, 0
	s_or_b32 s5, s5, exec_lo
	s_delay_alu instid0(VALU_DEP_1)
	v_mov_b64_e32 v[12:13], v[8:9]
	s_or_b32 exec_lo, exec_lo, s4
	s_and_saveexec_b32 s4, s5
	s_cbranch_execnz .LBB0_185
	s_branch .LBB0_186
.LBB0_207:
	v_cmp_eq_u32_e32 vcc_lo, 0x54, v12
	s_and_b32 s0, vcc_lo, exec_lo
	s_and_not1_saveexec_b32 s6, s6
	s_cbranch_execz .LBB0_194
.LBB0_208:
	v_cmp_eq_u32_e32 vcc_lo, 0x48, v12
	s_and_not1_b32 s0, s0, exec_lo
	s_and_b32 s7, vcc_lo, exec_lo
	s_delay_alu instid0(SALU_CYCLE_1)
	s_or_b32 s0, s0, s7
	s_or_b32 exec_lo, exec_lo, s6
	v_mov_b64_e32 v[4:5], v[2:3]
	s_and_saveexec_b32 s6, s0
	s_cbranch_execz .LBB0_212
.LBB0_209:
	v_subrev_nc_u32_e32 v4, 64, v12
	v_sub_nc_u32_e32 v6, 0x60, v12
	s_delay_alu instid0(VALU_DEP_2) | instskip(NEXT) | instid1(VALU_DEP_2)
	v_lshlrev_b64_e32 v[4:5], v4, v[2:3]
	v_lshrrev_b64 v[6:7], v6, v[2:3]
	s_delay_alu instid0(VALU_DEP_2) | instskip(SKIP_1) | instid1(VALU_DEP_2)
	v_sub_nc_u32_e32 v5, 0, v4
	v_cmp_eq_u32_e32 vcc_lo, 0, v4
	v_sub_co_u32 v5, s7, v5, v6
	v_sub_nc_u32_e32 v6, 0x80, v12
	s_and_b32 vcc_lo, s7, vcc_lo
	s_delay_alu instid0(VALU_DEP_2) | instskip(NEXT) | instid1(VALU_DEP_2)
	v_cmp_eq_u32_e64 s0, -1, v5
	v_lshrrev_b64 v[6:7], v6, v[2:3]
	s_delay_alu instid0(VALU_DEP_2) | instskip(NEXT) | instid1(VALU_DEP_1)
	v_cndmask_b32_e64 v8, -2, -1, s0
	v_cndmask_b32_e32 v7, v4, v8, vcc_lo
	v_add_co_ci_u32_e64 v4, null, 0, v5, vcc_lo
	s_delay_alu instid0(VALU_DEP_2)
	v_sub_co_u32 v5, s7, v7, v6
	s_and_saveexec_b32 s0, s7
; %bb.210:
	v_add_nc_u32_e32 v6, -1, v5
	v_add_co_u32 v4, vcc_lo, v4, 1
	s_delay_alu instid0(VALU_DEP_2)
	v_cndmask_b32_e32 v5, v6, v5, vcc_lo
; %bb.211:
	s_or_b32 exec_lo, exec_lo, s0
.LBB0_212:
	s_delay_alu instid0(SALU_CYCLE_1)
	s_or_b32 exec_lo, exec_lo, s6
.LBB0_213:
	s_or_saveexec_b32 s0, s5
	s_mov_b32 s5, 0
	s_xor_b32 exec_lo, exec_lo, s0
	s_cbranch_execz .LBB0_219
; %bb.214:
	s_mov_b32 s6, exec_lo
	v_cmpx_lt_i32_e32 59, v12
	s_xor_b32 s6, exec_lo, s6
; %bb.215:
	v_cmp_eq_u32_e32 vcc_lo, 60, v12
	s_and_b32 s5, vcc_lo, exec_lo
; %bb.216:
	s_and_not1_saveexec_b32 s6, s6
; %bb.217:
	v_cmp_eq_u32_e32 vcc_lo, 48, v12
	s_and_not1_b32 s5, s5, exec_lo
	s_and_b32 s7, vcc_lo, exec_lo
	s_delay_alu instid0(SALU_CYCLE_1)
	s_or_b32 s5, s5, s7
; %bb.218:
	s_or_b32 exec_lo, exec_lo, s6
	v_mov_b64_e32 v[4:5], v[2:3]
	s_and_b32 s5, s5, exec_lo
.LBB0_219:
	s_or_b32 exec_lo, exec_lo, s0
	s_delay_alu instid0(SALU_CYCLE_1)
	s_and_b32 s0, s5, exec_lo
	s_or_saveexec_b32 s5, s4
	s_mov_b32 s4, 0
	s_xor_b32 exec_lo, exec_lo, s5
	s_cbranch_execz .LBB0_190
.LBB0_220:
	s_mov_b32 s6, 0
	s_mov_b32 s4, -1
	s_mov_b32 s7, s0
	s_mov_b32 s1, exec_lo
	v_cmpx_lt_i32_e32 23, v12
	s_cbranch_execz .LBB0_224
; %bb.221:
	s_mov_b32 s6, -1
	s_mov_b32 s7, s0
	s_mov_b32 s4, exec_lo
	v_cmpx_lt_i32_e32 35, v12
; %bb.222:
	v_cmp_eq_u32_e32 vcc_lo, 36, v12
	s_and_not1_b32 s7, s0, exec_lo
	s_xor_b32 s6, exec_lo, -1
	s_and_b32 s9, vcc_lo, exec_lo
	s_delay_alu instid0(SALU_CYCLE_1)
	s_or_b32 s7, s7, s9
; %bb.223:
	s_or_b32 exec_lo, exec_lo, s4
	s_delay_alu instid0(SALU_CYCLE_1)
	s_and_not1_b32 s9, s0, exec_lo
	s_and_b32 s7, s7, exec_lo
	s_xor_b32 s4, exec_lo, -1
	s_and_b32 s6, s6, exec_lo
	s_or_b32 s7, s9, s7
.LBB0_224:
	s_or_b32 exec_lo, exec_lo, s1
	v_mov_b64_e32 v[4:5], v[2:3]
	s_and_not1_b32 s0, s0, exec_lo
	s_and_b32 s7, s7, exec_lo
	s_and_b32 s4, s4, exec_lo
	;; [unrolled: 1-line block ×3, first 2 shown]
	s_or_b32 s0, s0, s7
	s_or_b32 exec_lo, exec_lo, s5
	v_sub_nc_u32_e32 v10, 64, v12
	s_and_saveexec_b32 s5, s0
	s_cbranch_execz .LBB0_238
.LBB0_225:
	v_subrev_nc_u32_e32 v4, 32, v12
	s_delay_alu instid0(VALU_DEP_2) | instskip(SKIP_2) | instid1(VALU_DEP_2)
	v_lshrrev_b64 v[8:9], v10, v[2:3]
	s_mov_b32 s6, 0
	s_mov_b32 s7, -1
	v_lshlrev_b64_e32 v[4:5], v4, v[2:3]
	v_mov_b32_e32 v5, 0
	s_delay_alu instid0(VALU_DEP_1) | instskip(NEXT) | instid1(VALU_DEP_1)
	v_mov_b32_e32 v9, v5
	v_add_nc_u64_e32 v[6:7], v[8:9], v[4:5]
	v_sub_co_u32 v5, s0, 0, v8
	v_mov_b32_e32 v4, -1
	s_xor_b32 s0, s0, -1
	s_delay_alu instid0(VALU_DEP_3) | instskip(SKIP_1) | instid1(SALU_CYCLE_1)
	v_cmp_ne_u32_e32 vcc_lo, 0, v6
	s_or_b32 s9, s0, vcc_lo
	s_and_saveexec_b32 s0, s9
	s_cbranch_execz .LBB0_231
; %bb.226:
	v_mov_b32_e32 v4, v6
	s_mov_b64 s[10:11], 0xffffffff
	s_mov_b32 s7, exec_lo
	v_cmpx_lt_u64_e64 s[10:11], v[6:7]
	s_cbranch_execz .LBB0_230
; %bb.227:
	v_dual_mov_b32 v5, -1 :: v_dual_mov_b32 v4, v6
	s_mov_b32 s9, exec_lo
	v_cmpx_ne_u32_e32 0, v8
; %bb.228:
	v_not_b32_e32 v5, v8
	v_add_nc_u32_e32 v4, 1, v6
	s_mov_b32 s6, exec_lo
; %bb.229:
	s_or_b32 exec_lo, exec_lo, s9
	s_delay_alu instid0(SALU_CYCLE_1)
	s_and_b32 s6, s6, exec_lo
.LBB0_230:
	s_or_b32 exec_lo, exec_lo, s7
	s_delay_alu instid0(SALU_CYCLE_1)
	s_or_not1_b32 s7, s6, exec_lo
.LBB0_231:
	s_or_b32 exec_lo, exec_lo, s0
	s_and_saveexec_b32 s0, s7
; %bb.232:
	v_mov_b64_e32 v[6:7], v[4:5]
; %bb.233:
	s_or_b32 exec_lo, exec_lo, s0
	v_sub_nc_u32_e32 v7, 0x60, v12
	v_cmp_ne_u32_e64 s0, 0, v4
	s_delay_alu instid0(VALU_DEP_2) | instskip(NEXT) | instid1(VALU_DEP_1)
	v_lshrrev_b64 v[8:9], v7, v[2:3]
	v_cmp_ge_u32_e32 vcc_lo, v5, v8
	v_sub_nc_u32_e32 v7, v5, v8
                                        ; implicit-def: $vgpr4_vgpr5
	s_or_b32 s0, vcc_lo, s0
	s_delay_alu instid0(SALU_CYCLE_1) | instskip(NEXT) | instid1(SALU_CYCLE_1)
	s_and_saveexec_b32 s6, s0
	s_xor_b32 s0, exec_lo, s6
; %bb.234:
	v_dual_mov_b32 v4, 0 :: v_dual_mov_b32 v5, v6
; %bb.235:
	s_and_not1_saveexec_b32 s0, s0
; %bb.236:
	v_add_co_u32 v7, s6, v7, 1
	s_delay_alu instid0(VALU_DEP_1)
	v_cndmask_b32_e64 v5, -2, -1, s6
	v_mov_b32_e32 v4, 0
; %bb.237:
	s_or_b32 exec_lo, exec_lo, s0
	s_delay_alu instid0(VALU_DEP_1)
	v_or_b32_e32 v4, v4, v7
.LBB0_238:
	s_or_b32 exec_lo, exec_lo, s5
	s_mov_b32 s5, 0
	s_and_saveexec_b32 s0, s1
	s_delay_alu instid0(SALU_CYCLE_1)
	s_xor_b32 s0, exec_lo, s0
	s_cbranch_execnz .LBB0_241
; %bb.239:
	s_or_b32 exec_lo, exec_lo, s0
	s_and_saveexec_b32 s0, s4
	s_cbranch_execnz .LBB0_242
.LBB0_240:
	s_or_b32 exec_lo, exec_lo, s0
	s_and_saveexec_b32 s0, s5
	s_cbranch_execnz .LBB0_243
	s_branch .LBB0_248
.LBB0_241:
	v_cmp_eq_u32_e32 vcc_lo, 24, v12
	v_mov_b64_e32 v[4:5], v[2:3]
	s_and_b32 s5, vcc_lo, exec_lo
	s_or_b32 exec_lo, exec_lo, s0
	s_and_saveexec_b32 s0, s4
	s_cbranch_execz .LBB0_240
.LBB0_242:
	v_cmp_eq_u32_e32 vcc_lo, 12, v12
	v_mov_b64_e32 v[4:5], v[2:3]
	s_and_not1_b32 s1, s5, exec_lo
	s_and_b32 s4, vcc_lo, exec_lo
	s_delay_alu instid0(SALU_CYCLE_1)
	s_or_b32 s5, s1, s4
	s_or_b32 exec_lo, exec_lo, s0
	s_and_saveexec_b32 s0, s5
	s_cbranch_execz .LBB0_248
.LBB0_243:
	v_sub_nc_u32_e32 v4, 32, v12
	v_lshrrev_b64 v[10:11], v10, v[2:3]
	v_lshlrev_b64_e32 v[12:13], v12, v[2:3]
	v_mov_b64_e32 v[6:7], 0xffffffff00000000
	s_mov_b32 s4, 0
	v_lshrrev_b64 v[4:5], v4, v[2:3]
	v_mov_b32_e32 v5, 0
	s_mov_b32 s5, -1
	s_delay_alu instid0(VALU_DEP_4) | instskip(SKIP_2) | instid1(VALU_DEP_1)
	v_sub_co_u32 v2, s1, v12, v10
	s_xor_b32 s1, s1, -1
	v_add_nc_u64_e32 v[8:9], v[4:5], v[10:11]
                                        ; implicit-def: $vgpr4_vgpr5
	v_cmp_ne_u32_e32 vcc_lo, 0, v8
	s_or_b32 s6, s1, vcc_lo
	s_delay_alu instid0(SALU_CYCLE_1)
	s_and_saveexec_b32 s1, s6
	s_cbranch_execnz .LBB0_465
; %bb.244:
	s_or_b32 exec_lo, exec_lo, s1
	v_mov_b64_e32 v[8:9], 0xffffffff
	s_and_saveexec_b32 s1, s5
	s_cbranch_execnz .LBB0_470
.LBB0_245:
	s_or_b32 exec_lo, exec_lo, s1
	s_and_saveexec_b32 s1, s4
.LBB0_246:
	s_delay_alu instid0(VALU_DEP_1) | instskip(NEXT) | instid1(VALU_DEP_1)
	v_or_b32_e32 v9, v7, v9
	v_mov_b64_e32 v[4:5], v[8:9]
.LBB0_247:
	s_or_b32 exec_lo, exec_lo, s1
.LBB0_248:
	s_delay_alu instid0(SALU_CYCLE_1) | instskip(SKIP_2) | instid1(VALU_DEP_1)
	s_or_b32 exec_lo, exec_lo, s0
	s_mov_b64 s[0:1], 0xffffffff
	s_mov_b64 s[4:5], 0xffffffff00000001
	v_add_nc_u64_e32 v[2:3], s[0:1], v[4:5]
	v_cmp_lt_u64_e32 vcc_lo, s[4:5], v[4:5]
	v_and_b32_e32 v28, 0x1c0, v34
	v_and_b32_e32 v29, 7, v0
	s_mov_b32 s6, exec_lo
	s_delay_alu instid0(VALU_DEP_4) | instskip(NEXT) | instid1(VALU_DEP_2)
	v_dual_mov_b32 v26, 0 :: v_dual_cndmask_b32 v3, v5, v3
	v_dual_cndmask_b32 v2, v4, v2, vcc_lo :: v_dual_bitop2_b32 v6, v29, v28 bitop3:0x54
	s_delay_alu instid0(VALU_DEP_1)
	v_lshlrev_b32_e32 v18, 3, v6
	ds_store_b64 v1, v[2:3] offset:56
	s_wait_dscnt 0x0
	s_barrier_signal -1
	s_barrier_wait -1
	ds_load_2addr_b64 v[14:17], v18 offset1:8
	s_wait_dscnt 0x0
	v_add_nc_u64_e32 v[2:3], v[16:17], v[14:15]
	s_delay_alu instid0(VALU_DEP_1) | instskip(SKIP_1) | instid1(VALU_DEP_2)
	v_add_nc_u64_e32 v[4:5], s[0:1], v[2:3]
	v_cmp_lt_u64_e32 vcc_lo, v[2:3], v[16:17]
	v_dual_cndmask_b32 v3, v3, v5 :: v_dual_cndmask_b32 v2, v2, v4
	s_delay_alu instid0(VALU_DEP_1) | instskip(NEXT) | instid1(VALU_DEP_1)
	v_add_nc_u64_e32 v[4:5], s[0:1], v[2:3]
	v_min_u64 v[2:3], v[4:5], v[2:3]
	s_delay_alu instid0(VALU_DEP_1) | instskip(NEXT) | instid1(VALU_DEP_1)
	v_add_nc_u64_e32 v[4:5], s[0:1], v[2:3]
	v_min_u64 v[20:21], v[4:5], v[2:3]
	ds_load_2addr_b64 v[10:13], v18 offset0:16 offset1:24
	ds_load_2addr_b64 v[6:9], v18 offset0:32 offset1:40
	;; [unrolled: 1-line block ×3, first 2 shown]
	v_cmpx_ne_u64_e32 0, v[20:21]
	s_cbranch_execz .LBB0_275
; %bb.249:
	s_mov_b64 s[4:5], 0xfffeffff00010001
	v_mov_b64_e32 v[26:27], 0
	v_max_u64 v[18:19], v[20:21], s[4:5]
	v_min_u64 v[20:21], v[20:21], s[4:5]
	s_movk_i32 s7, 0xffc0
	s_mov_b64 s[4:5], 60
	s_delay_alu instid0(VALU_DEP_2)
	v_add_nc_u64_e32 v[22:23], s[0:1], v[18:19]
	v_not_b32_e32 v25, v19
	v_not_b32_e32 v24, v18
	s_branch .LBB0_252
.LBB0_250:                              ;   in Loop: Header=BB0_252 Depth=1
	s_or_b32 exec_lo, exec_lo, s10
.LBB0_251:                              ;   in Loop: Header=BB0_252 Depth=1
	s_delay_alu instid0(SALU_CYCLE_1) | instskip(NEXT) | instid1(VALU_DEP_1)
	s_or_b32 exec_lo, exec_lo, s9
	v_add_nc_u64_e32 v[30:31], s[0:1], v[26:27]
	s_add_co_i32 s7, s7, 4
	s_add_nc_u64 s[4:5], s[4:5], -4
	s_cmp_lg_u32 s7, 0
	s_delay_alu instid0(VALU_DEP_1)
	v_min_u64 v[26:27], v[26:27], v[30:31]
	s_cbranch_scc0 .LBB0_275
.LBB0_252:                              ; =>This Inner Loop Header: Depth=1
	s_delay_alu instid0(VALU_DEP_1) | instskip(SKIP_4) | instid1(VALU_DEP_3)
	v_lshlrev_b64_e32 v[30:31], 1, v[26:27]
	s_add_co_i32 s9, s4, 3
	v_cmp_gt_i64_e32 vcc_lo, 0, v[26:27]
	v_lshrrev_b64 v[32:33], s9, v[20:21]
	s_mov_b32 s9, exec_lo
	v_add_nc_u64_e32 v[34:35], s[0:1], v[30:31]
	s_delay_alu instid0(VALU_DEP_1) | instskip(NEXT) | instid1(VALU_DEP_2)
	v_dual_cndmask_b32 v27, v31, v35, vcc_lo :: v_dual_bitop2_b32 v1, 1, v32 bitop3:0x40
	v_cndmask_b32_e32 v26, v30, v34, vcc_lo
	s_delay_alu instid0(VALU_DEP_2)
	v_cmpx_eq_u32_e32 1, v1
	s_cbranch_execz .LBB0_258
; %bb.253:                              ;   in Loop: Header=BB0_252 Depth=1
	s_mov_b32 s10, exec_lo
	s_delay_alu instid0(VALU_DEP_2)
	v_cmpx_le_u64_e64 v[26:27], v[24:25]
	s_xor_b32 s10, exec_lo, s10
; %bb.254:                              ;   in Loop: Header=BB0_252 Depth=1
	v_add_nc_u64_e32 v[26:27], v[26:27], v[18:19]
; %bb.255:                              ;   in Loop: Header=BB0_252 Depth=1
	s_and_not1_saveexec_b32 s10, s10
; %bb.256:                              ;   in Loop: Header=BB0_252 Depth=1
	s_delay_alu instid0(VALU_DEP_1)
	v_add_nc_u64_e32 v[26:27], v[22:23], v[26:27]
; %bb.257:                              ;   in Loop: Header=BB0_252 Depth=1
	s_or_b32 exec_lo, exec_lo, s10
.LBB0_258:                              ;   in Loop: Header=BB0_252 Depth=1
	s_delay_alu instid0(SALU_CYCLE_1) | instskip(NEXT) | instid1(VALU_DEP_1)
	s_or_b32 exec_lo, exec_lo, s9
	v_add_nc_u64_e32 v[30:31], s[0:1], v[26:27]
	s_add_co_i32 s9, s4, 2
	s_delay_alu instid0(SALU_CYCLE_1) | instskip(SKIP_1) | instid1(VALU_DEP_2)
	v_lshrrev_b64 v[32:33], s9, v[20:21]
	s_mov_b32 s9, exec_lo
	v_min_u64 v[26:27], v[26:27], v[30:31]
	s_delay_alu instid0(VALU_DEP_1) | instskip(SKIP_1) | instid1(VALU_DEP_2)
	v_lshlrev_b64_e32 v[30:31], 1, v[26:27]
	v_cmp_gt_i64_e32 vcc_lo, 0, v[26:27]
	v_add_nc_u64_e32 v[34:35], s[0:1], v[30:31]
	s_delay_alu instid0(VALU_DEP_1) | instskip(NEXT) | instid1(VALU_DEP_2)
	v_dual_cndmask_b32 v27, v31, v35, vcc_lo :: v_dual_bitop2_b32 v1, 1, v32 bitop3:0x40
	v_cndmask_b32_e32 v26, v30, v34, vcc_lo
	s_delay_alu instid0(VALU_DEP_2)
	v_cmpx_eq_u32_e32 1, v1
	s_cbranch_execz .LBB0_264
; %bb.259:                              ;   in Loop: Header=BB0_252 Depth=1
	s_mov_b32 s10, exec_lo
	s_delay_alu instid0(VALU_DEP_2)
	v_cmpx_le_u64_e64 v[26:27], v[24:25]
	s_xor_b32 s10, exec_lo, s10
; %bb.260:                              ;   in Loop: Header=BB0_252 Depth=1
	v_add_nc_u64_e32 v[26:27], v[26:27], v[18:19]
; %bb.261:                              ;   in Loop: Header=BB0_252 Depth=1
	s_and_not1_saveexec_b32 s10, s10
; %bb.262:                              ;   in Loop: Header=BB0_252 Depth=1
	s_delay_alu instid0(VALU_DEP_1)
	v_add_nc_u64_e32 v[26:27], v[22:23], v[26:27]
; %bb.263:                              ;   in Loop: Header=BB0_252 Depth=1
	s_or_b32 exec_lo, exec_lo, s10
.LBB0_264:                              ;   in Loop: Header=BB0_252 Depth=1
	s_delay_alu instid0(SALU_CYCLE_1) | instskip(NEXT) | instid1(VALU_DEP_1)
	s_or_b32 exec_lo, exec_lo, s9
	v_add_nc_u64_e32 v[30:31], s[0:1], v[26:27]
	s_add_co_i32 s9, s4, 1
	s_delay_alu instid0(SALU_CYCLE_1) | instskip(SKIP_1) | instid1(VALU_DEP_2)
	v_lshrrev_b64 v[32:33], s9, v[20:21]
	s_mov_b32 s9, exec_lo
	v_min_u64 v[26:27], v[26:27], v[30:31]
	s_delay_alu instid0(VALU_DEP_1) | instskip(SKIP_1) | instid1(VALU_DEP_2)
	v_lshlrev_b64_e32 v[30:31], 1, v[26:27]
	v_cmp_gt_i64_e32 vcc_lo, 0, v[26:27]
	v_add_nc_u64_e32 v[34:35], s[0:1], v[30:31]
	s_delay_alu instid0(VALU_DEP_1) | instskip(NEXT) | instid1(VALU_DEP_2)
	v_dual_cndmask_b32 v27, v31, v35, vcc_lo :: v_dual_bitop2_b32 v1, 1, v32 bitop3:0x40
	v_cndmask_b32_e32 v26, v30, v34, vcc_lo
	s_delay_alu instid0(VALU_DEP_2)
	v_cmpx_eq_u32_e32 1, v1
	s_cbranch_execz .LBB0_270
; %bb.265:                              ;   in Loop: Header=BB0_252 Depth=1
	s_mov_b32 s10, exec_lo
	s_delay_alu instid0(VALU_DEP_2)
	v_cmpx_le_u64_e64 v[26:27], v[24:25]
	s_xor_b32 s10, exec_lo, s10
; %bb.266:                              ;   in Loop: Header=BB0_252 Depth=1
	v_add_nc_u64_e32 v[26:27], v[26:27], v[18:19]
; %bb.267:                              ;   in Loop: Header=BB0_252 Depth=1
	s_and_not1_saveexec_b32 s10, s10
; %bb.268:                              ;   in Loop: Header=BB0_252 Depth=1
	s_delay_alu instid0(VALU_DEP_1)
	v_add_nc_u64_e32 v[26:27], v[22:23], v[26:27]
; %bb.269:                              ;   in Loop: Header=BB0_252 Depth=1
	s_or_b32 exec_lo, exec_lo, s10
.LBB0_270:                              ;   in Loop: Header=BB0_252 Depth=1
	s_delay_alu instid0(SALU_CYCLE_1) | instskip(NEXT) | instid1(VALU_DEP_1)
	s_or_b32 exec_lo, exec_lo, s9
	v_add_nc_u64_e32 v[30:31], s[0:1], v[26:27]
	v_lshrrev_b64 v[32:33], s4, v[20:21]
	s_mov_b32 s9, exec_lo
	s_delay_alu instid0(VALU_DEP_2) | instskip(NEXT) | instid1(VALU_DEP_1)
	v_min_u64 v[26:27], v[26:27], v[30:31]
	v_lshlrev_b64_e32 v[30:31], 1, v[26:27]
	v_cmp_gt_i64_e32 vcc_lo, 0, v[26:27]
	s_delay_alu instid0(VALU_DEP_2) | instskip(NEXT) | instid1(VALU_DEP_1)
	v_add_nc_u64_e32 v[34:35], s[0:1], v[30:31]
	v_dual_cndmask_b32 v27, v31, v35, vcc_lo :: v_dual_bitop2_b32 v1, 1, v32 bitop3:0x40
	s_delay_alu instid0(VALU_DEP_2) | instskip(NEXT) | instid1(VALU_DEP_2)
	v_cndmask_b32_e32 v26, v30, v34, vcc_lo
	v_cmpx_eq_u32_e32 1, v1
	s_cbranch_execz .LBB0_251
; %bb.271:                              ;   in Loop: Header=BB0_252 Depth=1
	s_mov_b32 s10, exec_lo
	s_delay_alu instid0(VALU_DEP_2)
	v_cmpx_le_u64_e64 v[26:27], v[24:25]
	s_xor_b32 s10, exec_lo, s10
; %bb.272:                              ;   in Loop: Header=BB0_252 Depth=1
	v_add_nc_u64_e32 v[26:27], v[26:27], v[18:19]
; %bb.273:                              ;   in Loop: Header=BB0_252 Depth=1
	s_and_not1_saveexec_b32 s10, s10
	s_cbranch_execz .LBB0_250
; %bb.274:                              ;   in Loop: Header=BB0_252 Depth=1
	s_delay_alu instid0(VALU_DEP_1)
	v_add_nc_u64_e32 v[26:27], v[22:23], v[26:27]
	s_branch .LBB0_250
.LBB0_275:
	s_or_b32 exec_lo, exec_lo, s6
	v_sub_nc_u64_e32 v[18:19], v[14:15], v[16:17]
	v_cmp_lt_u64_e32 vcc_lo, v[14:15], v[16:17]
	s_mov_b64 s[0:1], 0xffffffff
	v_or_b32_e32 v1, s8, v28
	s_mov_b32 s6, exec_lo
	v_mov_b32_e32 v22, 0
	s_delay_alu instid0(VALU_DEP_4) | instskip(NEXT) | instid1(VALU_DEP_1)
	v_add_nc_u64_e32 v[20:21], 0xffffffff00000001, v[18:19]
	v_dual_cndmask_b32 v15, v19, v21 :: v_dual_cndmask_b32 v14, v18, v20
	s_delay_alu instid0(VALU_DEP_1) | instskip(NEXT) | instid1(VALU_DEP_1)
	v_add_nc_u64_e32 v[16:17], s[0:1], v[14:15]
	v_min_u64 v[16:17], v[16:17], v[14:15]
	v_lshlrev_b32_e32 v14, 12, v29
	v_lshrrev_b32_e32 v1, 4, v1
	s_delay_alu instid0(VALU_DEP_1)
	v_or_b32_e32 v24, v14, v1
	s_wait_kmcnt 0x0
	global_store_b32 v24, v26, s[2:3] scale_offset
	s_wait_xcnt 0x0
	v_cmpx_ne_u64_e32 0, v[16:17]
	s_cbranch_execz .LBB0_302
; %bb.276:
	s_mov_b64 s[4:5], 0xfffeffff00010001
	v_mov_b64_e32 v[22:23], 0
	v_max_u64 v[14:15], v[16:17], s[4:5]
	v_min_u64 v[16:17], v[16:17], s[4:5]
	s_movk_i32 s7, 0xffc0
	s_mov_b64 s[4:5], 60
	s_delay_alu instid0(VALU_DEP_2)
	v_add_nc_u64_e32 v[18:19], s[0:1], v[14:15]
	v_not_b32_e32 v21, v15
	v_not_b32_e32 v20, v14
	s_branch .LBB0_279
.LBB0_277:                              ;   in Loop: Header=BB0_279 Depth=1
	s_or_b32 exec_lo, exec_lo, s9
.LBB0_278:                              ;   in Loop: Header=BB0_279 Depth=1
	s_delay_alu instid0(SALU_CYCLE_1) | instskip(NEXT) | instid1(VALU_DEP_1)
	s_or_b32 exec_lo, exec_lo, s8
	v_add_nc_u64_e32 v[26:27], s[0:1], v[22:23]
	s_add_co_i32 s7, s7, 4
	s_add_nc_u64 s[4:5], s[4:5], -4
	s_cmp_lg_u32 s7, 0
	s_delay_alu instid0(VALU_DEP_1)
	v_min_u64 v[22:23], v[22:23], v[26:27]
	s_cbranch_scc0 .LBB0_302
.LBB0_279:                              ; =>This Inner Loop Header: Depth=1
	s_delay_alu instid0(VALU_DEP_1) | instskip(SKIP_4) | instid1(VALU_DEP_3)
	v_lshlrev_b64_e32 v[26:27], 1, v[22:23]
	s_add_co_i32 s8, s4, 3
	v_cmp_gt_i64_e32 vcc_lo, 0, v[22:23]
	v_lshrrev_b64 v[28:29], s8, v[16:17]
	s_mov_b32 s8, exec_lo
	v_add_nc_u64_e32 v[30:31], s[0:1], v[26:27]
	s_delay_alu instid0(VALU_DEP_1) | instskip(NEXT) | instid1(VALU_DEP_2)
	v_dual_cndmask_b32 v23, v27, v31, vcc_lo :: v_dual_bitop2_b32 v25, 1, v28 bitop3:0x40
	v_cndmask_b32_e32 v22, v26, v30, vcc_lo
	s_delay_alu instid0(VALU_DEP_2)
	v_cmpx_eq_u32_e32 1, v25
	s_cbranch_execz .LBB0_285
; %bb.280:                              ;   in Loop: Header=BB0_279 Depth=1
	s_mov_b32 s9, exec_lo
	s_delay_alu instid0(VALU_DEP_2)
	v_cmpx_le_u64_e64 v[22:23], v[20:21]
	s_xor_b32 s9, exec_lo, s9
; %bb.281:                              ;   in Loop: Header=BB0_279 Depth=1
	v_add_nc_u64_e32 v[22:23], v[22:23], v[14:15]
; %bb.282:                              ;   in Loop: Header=BB0_279 Depth=1
	s_and_not1_saveexec_b32 s9, s9
; %bb.283:                              ;   in Loop: Header=BB0_279 Depth=1
	s_delay_alu instid0(VALU_DEP_1)
	v_add_nc_u64_e32 v[22:23], v[18:19], v[22:23]
; %bb.284:                              ;   in Loop: Header=BB0_279 Depth=1
	s_or_b32 exec_lo, exec_lo, s9
.LBB0_285:                              ;   in Loop: Header=BB0_279 Depth=1
	s_delay_alu instid0(SALU_CYCLE_1) | instskip(NEXT) | instid1(VALU_DEP_1)
	s_or_b32 exec_lo, exec_lo, s8
	v_add_nc_u64_e32 v[26:27], s[0:1], v[22:23]
	s_add_co_i32 s8, s4, 2
	s_delay_alu instid0(SALU_CYCLE_1) | instskip(SKIP_1) | instid1(VALU_DEP_2)
	v_lshrrev_b64 v[28:29], s8, v[16:17]
	s_mov_b32 s8, exec_lo
	v_min_u64 v[22:23], v[22:23], v[26:27]
	s_delay_alu instid0(VALU_DEP_1) | instskip(SKIP_1) | instid1(VALU_DEP_2)
	v_lshlrev_b64_e32 v[26:27], 1, v[22:23]
	v_cmp_gt_i64_e32 vcc_lo, 0, v[22:23]
	v_add_nc_u64_e32 v[30:31], s[0:1], v[26:27]
	s_delay_alu instid0(VALU_DEP_1) | instskip(NEXT) | instid1(VALU_DEP_2)
	v_dual_cndmask_b32 v23, v27, v31, vcc_lo :: v_dual_bitop2_b32 v25, 1, v28 bitop3:0x40
	v_cndmask_b32_e32 v22, v26, v30, vcc_lo
	s_delay_alu instid0(VALU_DEP_2)
	v_cmpx_eq_u32_e32 1, v25
	s_cbranch_execz .LBB0_291
; %bb.286:                              ;   in Loop: Header=BB0_279 Depth=1
	s_mov_b32 s9, exec_lo
	s_delay_alu instid0(VALU_DEP_2)
	v_cmpx_le_u64_e64 v[22:23], v[20:21]
	s_xor_b32 s9, exec_lo, s9
; %bb.287:                              ;   in Loop: Header=BB0_279 Depth=1
	v_add_nc_u64_e32 v[22:23], v[22:23], v[14:15]
; %bb.288:                              ;   in Loop: Header=BB0_279 Depth=1
	s_and_not1_saveexec_b32 s9, s9
; %bb.289:                              ;   in Loop: Header=BB0_279 Depth=1
	s_delay_alu instid0(VALU_DEP_1)
	v_add_nc_u64_e32 v[22:23], v[18:19], v[22:23]
; %bb.290:                              ;   in Loop: Header=BB0_279 Depth=1
	s_or_b32 exec_lo, exec_lo, s9
.LBB0_291:                              ;   in Loop: Header=BB0_279 Depth=1
	s_delay_alu instid0(SALU_CYCLE_1) | instskip(NEXT) | instid1(VALU_DEP_1)
	s_or_b32 exec_lo, exec_lo, s8
	v_add_nc_u64_e32 v[26:27], s[0:1], v[22:23]
	s_add_co_i32 s8, s4, 1
	s_delay_alu instid0(SALU_CYCLE_1) | instskip(SKIP_1) | instid1(VALU_DEP_2)
	v_lshrrev_b64 v[28:29], s8, v[16:17]
	s_mov_b32 s8, exec_lo
	v_min_u64 v[22:23], v[22:23], v[26:27]
	s_delay_alu instid0(VALU_DEP_1) | instskip(SKIP_1) | instid1(VALU_DEP_2)
	v_lshlrev_b64_e32 v[26:27], 1, v[22:23]
	v_cmp_gt_i64_e32 vcc_lo, 0, v[22:23]
	v_add_nc_u64_e32 v[30:31], s[0:1], v[26:27]
	s_delay_alu instid0(VALU_DEP_1) | instskip(NEXT) | instid1(VALU_DEP_2)
	v_dual_cndmask_b32 v23, v27, v31, vcc_lo :: v_dual_bitop2_b32 v25, 1, v28 bitop3:0x40
	v_cndmask_b32_e32 v22, v26, v30, vcc_lo
	s_delay_alu instid0(VALU_DEP_2)
	v_cmpx_eq_u32_e32 1, v25
	s_cbranch_execz .LBB0_297
; %bb.292:                              ;   in Loop: Header=BB0_279 Depth=1
	s_mov_b32 s9, exec_lo
	s_delay_alu instid0(VALU_DEP_2)
	v_cmpx_le_u64_e64 v[22:23], v[20:21]
	s_xor_b32 s9, exec_lo, s9
; %bb.293:                              ;   in Loop: Header=BB0_279 Depth=1
	v_add_nc_u64_e32 v[22:23], v[22:23], v[14:15]
; %bb.294:                              ;   in Loop: Header=BB0_279 Depth=1
	s_and_not1_saveexec_b32 s9, s9
; %bb.295:                              ;   in Loop: Header=BB0_279 Depth=1
	s_delay_alu instid0(VALU_DEP_1)
	v_add_nc_u64_e32 v[22:23], v[18:19], v[22:23]
; %bb.296:                              ;   in Loop: Header=BB0_279 Depth=1
	s_or_b32 exec_lo, exec_lo, s9
.LBB0_297:                              ;   in Loop: Header=BB0_279 Depth=1
	s_delay_alu instid0(SALU_CYCLE_1) | instskip(NEXT) | instid1(VALU_DEP_1)
	s_or_b32 exec_lo, exec_lo, s8
	v_add_nc_u64_e32 v[26:27], s[0:1], v[22:23]
	v_lshrrev_b64 v[28:29], s4, v[16:17]
	s_mov_b32 s8, exec_lo
	s_delay_alu instid0(VALU_DEP_2) | instskip(NEXT) | instid1(VALU_DEP_1)
	v_min_u64 v[22:23], v[22:23], v[26:27]
	v_lshlrev_b64_e32 v[26:27], 1, v[22:23]
	v_cmp_gt_i64_e32 vcc_lo, 0, v[22:23]
	s_delay_alu instid0(VALU_DEP_2) | instskip(NEXT) | instid1(VALU_DEP_1)
	v_add_nc_u64_e32 v[30:31], s[0:1], v[26:27]
	v_dual_cndmask_b32 v23, v27, v31, vcc_lo :: v_dual_bitop2_b32 v25, 1, v28 bitop3:0x40
	s_delay_alu instid0(VALU_DEP_2) | instskip(NEXT) | instid1(VALU_DEP_2)
	v_cndmask_b32_e32 v22, v26, v30, vcc_lo
	v_cmpx_eq_u32_e32 1, v25
	s_cbranch_execz .LBB0_278
; %bb.298:                              ;   in Loop: Header=BB0_279 Depth=1
	s_mov_b32 s9, exec_lo
	s_delay_alu instid0(VALU_DEP_2)
	v_cmpx_le_u64_e64 v[22:23], v[20:21]
	s_xor_b32 s9, exec_lo, s9
; %bb.299:                              ;   in Loop: Header=BB0_279 Depth=1
	v_add_nc_u64_e32 v[22:23], v[22:23], v[14:15]
; %bb.300:                              ;   in Loop: Header=BB0_279 Depth=1
	s_and_not1_saveexec_b32 s9, s9
	s_cbranch_execz .LBB0_277
; %bb.301:                              ;   in Loop: Header=BB0_279 Depth=1
	s_delay_alu instid0(VALU_DEP_1)
	v_add_nc_u64_e32 v[22:23], v[18:19], v[22:23]
	s_branch .LBB0_277
.LBB0_302:
	s_or_b32 exec_lo, exec_lo, s6
	s_wait_dscnt 0x2
	v_add_nc_u64_e32 v[14:15], v[12:13], v[10:11]
	s_mov_b64 s[0:1], 0xffffffff
	v_dual_lshlrev_b32 v0, 12, v0 :: v_dual_mov_b32 v20, 0
	s_mov_b32 s6, exec_lo
	s_delay_alu instid0(VALU_DEP_1) | instskip(NEXT) | instid1(VALU_DEP_3)
	v_and_or_b32 v23, 0x7000, v0, v1
	v_add_nc_u64_e32 v[16:17], s[0:1], v[14:15]
	v_cmp_lt_u64_e32 vcc_lo, v[14:15], v[12:13]
	s_delay_alu instid0(VALU_DEP_3) | instskip(NEXT) | instid1(VALU_DEP_3)
	v_lshl_or_b32 v0, v23, 2, 0x20000
	v_dual_cndmask_b32 v15, v15, v17 :: v_dual_cndmask_b32 v14, v14, v16
	global_store_b32 v0, v22, s[2:3]
	v_add_nc_u64_e32 v[16:17], s[0:1], v[14:15]
	s_delay_alu instid0(VALU_DEP_1) | instskip(NEXT) | instid1(VALU_DEP_1)
	v_min_u64 v[14:15], v[16:17], v[14:15]
	v_add_nc_u64_e32 v[16:17], s[0:1], v[14:15]
	s_delay_alu instid0(VALU_DEP_1) | instskip(SKIP_1) | instid1(VALU_DEP_1)
	v_min_u64 v[14:15], v[16:17], v[14:15]
	s_wait_xcnt 0x0
	v_cmpx_ne_u64_e32 0, v[14:15]
	s_cbranch_execz .LBB0_329
; %bb.303:
	s_mov_b64 s[4:5], 0xfffeffff00010001
	v_mov_b64_e32 v[20:21], 0
	v_max_u64 v[0:1], v[14:15], s[4:5]
	v_min_u64 v[14:15], v[14:15], s[4:5]
	s_movk_i32 s7, 0xffc0
	s_mov_b64 s[4:5], 60
	s_delay_alu instid0(VALU_DEP_2)
	v_add_nc_u64_e32 v[16:17], s[0:1], v[0:1]
	v_not_b32_e32 v19, v1
	v_not_b32_e32 v18, v0
	s_branch .LBB0_306
.LBB0_304:                              ;   in Loop: Header=BB0_306 Depth=1
	s_or_b32 exec_lo, exec_lo, s9
.LBB0_305:                              ;   in Loop: Header=BB0_306 Depth=1
	s_delay_alu instid0(SALU_CYCLE_1) | instskip(NEXT) | instid1(VALU_DEP_1)
	s_or_b32 exec_lo, exec_lo, s8
	v_add_nc_u64_e32 v[26:27], s[0:1], v[20:21]
	s_add_co_i32 s7, s7, 4
	s_add_nc_u64 s[4:5], s[4:5], -4
	s_cmp_lg_u32 s7, 0
	s_delay_alu instid0(VALU_DEP_1)
	v_min_u64 v[20:21], v[20:21], v[26:27]
	s_cbranch_scc0 .LBB0_329
.LBB0_306:                              ; =>This Inner Loop Header: Depth=1
	s_delay_alu instid0(VALU_DEP_1) | instskip(SKIP_4) | instid1(VALU_DEP_3)
	v_lshlrev_b64_e32 v[26:27], 1, v[20:21]
	s_add_co_i32 s8, s4, 3
	v_cmp_gt_i64_e32 vcc_lo, 0, v[20:21]
	v_lshrrev_b64 v[28:29], s8, v[14:15]
	s_mov_b32 s8, exec_lo
	v_add_nc_u64_e32 v[30:31], s[0:1], v[26:27]
	s_delay_alu instid0(VALU_DEP_1) | instskip(NEXT) | instid1(VALU_DEP_2)
	v_dual_cndmask_b32 v21, v27, v31, vcc_lo :: v_dual_bitop2_b32 v22, 1, v28 bitop3:0x40
	v_cndmask_b32_e32 v20, v26, v30, vcc_lo
	s_delay_alu instid0(VALU_DEP_2)
	v_cmpx_eq_u32_e32 1, v22
	s_cbranch_execz .LBB0_312
; %bb.307:                              ;   in Loop: Header=BB0_306 Depth=1
	s_mov_b32 s9, exec_lo
	s_delay_alu instid0(VALU_DEP_2)
	v_cmpx_le_u64_e64 v[20:21], v[18:19]
	s_xor_b32 s9, exec_lo, s9
; %bb.308:                              ;   in Loop: Header=BB0_306 Depth=1
	v_add_nc_u64_e32 v[20:21], v[20:21], v[0:1]
; %bb.309:                              ;   in Loop: Header=BB0_306 Depth=1
	s_and_not1_saveexec_b32 s9, s9
; %bb.310:                              ;   in Loop: Header=BB0_306 Depth=1
	s_delay_alu instid0(VALU_DEP_1)
	v_add_nc_u64_e32 v[20:21], v[16:17], v[20:21]
; %bb.311:                              ;   in Loop: Header=BB0_306 Depth=1
	s_or_b32 exec_lo, exec_lo, s9
.LBB0_312:                              ;   in Loop: Header=BB0_306 Depth=1
	s_delay_alu instid0(SALU_CYCLE_1) | instskip(NEXT) | instid1(VALU_DEP_1)
	s_or_b32 exec_lo, exec_lo, s8
	v_add_nc_u64_e32 v[26:27], s[0:1], v[20:21]
	s_add_co_i32 s8, s4, 2
	s_delay_alu instid0(SALU_CYCLE_1) | instskip(SKIP_1) | instid1(VALU_DEP_2)
	v_lshrrev_b64 v[28:29], s8, v[14:15]
	s_mov_b32 s8, exec_lo
	v_min_u64 v[20:21], v[20:21], v[26:27]
	s_delay_alu instid0(VALU_DEP_1) | instskip(SKIP_1) | instid1(VALU_DEP_2)
	v_lshlrev_b64_e32 v[26:27], 1, v[20:21]
	v_cmp_gt_i64_e32 vcc_lo, 0, v[20:21]
	v_add_nc_u64_e32 v[30:31], s[0:1], v[26:27]
	s_delay_alu instid0(VALU_DEP_1) | instskip(NEXT) | instid1(VALU_DEP_2)
	v_dual_cndmask_b32 v21, v27, v31, vcc_lo :: v_dual_bitop2_b32 v22, 1, v28 bitop3:0x40
	v_cndmask_b32_e32 v20, v26, v30, vcc_lo
	s_delay_alu instid0(VALU_DEP_2)
	v_cmpx_eq_u32_e32 1, v22
	s_cbranch_execz .LBB0_318
; %bb.313:                              ;   in Loop: Header=BB0_306 Depth=1
	s_mov_b32 s9, exec_lo
	s_delay_alu instid0(VALU_DEP_2)
	v_cmpx_le_u64_e64 v[20:21], v[18:19]
	s_xor_b32 s9, exec_lo, s9
; %bb.314:                              ;   in Loop: Header=BB0_306 Depth=1
	v_add_nc_u64_e32 v[20:21], v[20:21], v[0:1]
; %bb.315:                              ;   in Loop: Header=BB0_306 Depth=1
	s_and_not1_saveexec_b32 s9, s9
; %bb.316:                              ;   in Loop: Header=BB0_306 Depth=1
	s_delay_alu instid0(VALU_DEP_1)
	v_add_nc_u64_e32 v[20:21], v[16:17], v[20:21]
; %bb.317:                              ;   in Loop: Header=BB0_306 Depth=1
	s_or_b32 exec_lo, exec_lo, s9
.LBB0_318:                              ;   in Loop: Header=BB0_306 Depth=1
	s_delay_alu instid0(SALU_CYCLE_1) | instskip(NEXT) | instid1(VALU_DEP_1)
	s_or_b32 exec_lo, exec_lo, s8
	v_add_nc_u64_e32 v[26:27], s[0:1], v[20:21]
	s_add_co_i32 s8, s4, 1
	s_delay_alu instid0(SALU_CYCLE_1) | instskip(SKIP_1) | instid1(VALU_DEP_2)
	v_lshrrev_b64 v[28:29], s8, v[14:15]
	s_mov_b32 s8, exec_lo
	v_min_u64 v[20:21], v[20:21], v[26:27]
	s_delay_alu instid0(VALU_DEP_1) | instskip(SKIP_1) | instid1(VALU_DEP_2)
	v_lshlrev_b64_e32 v[26:27], 1, v[20:21]
	v_cmp_gt_i64_e32 vcc_lo, 0, v[20:21]
	v_add_nc_u64_e32 v[30:31], s[0:1], v[26:27]
	s_delay_alu instid0(VALU_DEP_1) | instskip(NEXT) | instid1(VALU_DEP_2)
	v_dual_cndmask_b32 v21, v27, v31, vcc_lo :: v_dual_bitop2_b32 v22, 1, v28 bitop3:0x40
	v_cndmask_b32_e32 v20, v26, v30, vcc_lo
	s_delay_alu instid0(VALU_DEP_2)
	v_cmpx_eq_u32_e32 1, v22
	s_cbranch_execz .LBB0_324
; %bb.319:                              ;   in Loop: Header=BB0_306 Depth=1
	s_mov_b32 s9, exec_lo
	s_delay_alu instid0(VALU_DEP_2)
	v_cmpx_le_u64_e64 v[20:21], v[18:19]
	s_xor_b32 s9, exec_lo, s9
; %bb.320:                              ;   in Loop: Header=BB0_306 Depth=1
	v_add_nc_u64_e32 v[20:21], v[20:21], v[0:1]
; %bb.321:                              ;   in Loop: Header=BB0_306 Depth=1
	s_and_not1_saveexec_b32 s9, s9
; %bb.322:                              ;   in Loop: Header=BB0_306 Depth=1
	s_delay_alu instid0(VALU_DEP_1)
	v_add_nc_u64_e32 v[20:21], v[16:17], v[20:21]
; %bb.323:                              ;   in Loop: Header=BB0_306 Depth=1
	s_or_b32 exec_lo, exec_lo, s9
.LBB0_324:                              ;   in Loop: Header=BB0_306 Depth=1
	s_delay_alu instid0(SALU_CYCLE_1) | instskip(NEXT) | instid1(VALU_DEP_1)
	s_or_b32 exec_lo, exec_lo, s8
	v_add_nc_u64_e32 v[26:27], s[0:1], v[20:21]
	v_lshrrev_b64 v[28:29], s4, v[14:15]
	s_mov_b32 s8, exec_lo
	s_delay_alu instid0(VALU_DEP_2) | instskip(NEXT) | instid1(VALU_DEP_1)
	v_min_u64 v[20:21], v[20:21], v[26:27]
	v_lshlrev_b64_e32 v[26:27], 1, v[20:21]
	v_cmp_gt_i64_e32 vcc_lo, 0, v[20:21]
	s_delay_alu instid0(VALU_DEP_2) | instskip(NEXT) | instid1(VALU_DEP_1)
	v_add_nc_u64_e32 v[30:31], s[0:1], v[26:27]
	v_dual_cndmask_b32 v21, v27, v31, vcc_lo :: v_dual_bitop2_b32 v22, 1, v28 bitop3:0x40
	s_delay_alu instid0(VALU_DEP_2) | instskip(NEXT) | instid1(VALU_DEP_2)
	v_cndmask_b32_e32 v20, v26, v30, vcc_lo
	v_cmpx_eq_u32_e32 1, v22
	s_cbranch_execz .LBB0_305
; %bb.325:                              ;   in Loop: Header=BB0_306 Depth=1
	s_mov_b32 s9, exec_lo
	s_delay_alu instid0(VALU_DEP_2)
	v_cmpx_le_u64_e64 v[20:21], v[18:19]
	s_xor_b32 s9, exec_lo, s9
; %bb.326:                              ;   in Loop: Header=BB0_306 Depth=1
	v_add_nc_u64_e32 v[20:21], v[20:21], v[0:1]
; %bb.327:                              ;   in Loop: Header=BB0_306 Depth=1
	s_and_not1_saveexec_b32 s9, s9
	s_cbranch_execz .LBB0_304
; %bb.328:                              ;   in Loop: Header=BB0_306 Depth=1
	s_delay_alu instid0(VALU_DEP_1)
	v_add_nc_u64_e32 v[20:21], v[16:17], v[20:21]
	s_branch .LBB0_304
.LBB0_329:
	s_or_b32 exec_lo, exec_lo, s6
	v_sub_nc_u64_e32 v[0:1], v[10:11], v[12:13]
	v_cmp_lt_u64_e32 vcc_lo, v[10:11], v[12:13]
	s_mov_b64 s[0:1], 0xffffffff
	v_mov_b32_e32 v16, 0
	s_mov_b32 s6, exec_lo
	s_delay_alu instid0(VALU_DEP_3) | instskip(NEXT) | instid1(VALU_DEP_1)
	v_add_nc_u64_e32 v[14:15], 0xffffffff00000001, v[0:1]
	v_dual_cndmask_b32 v1, v1, v15 :: v_dual_cndmask_b32 v0, v0, v14
	s_delay_alu instid0(VALU_DEP_1) | instskip(NEXT) | instid1(VALU_DEP_1)
	v_add_nc_u64_e32 v[10:11], s[0:1], v[0:1]
	v_min_u64 v[10:11], v[10:11], v[0:1]
	v_lshl_or_b32 v0, v24, 2, 4
	global_store_b32 v0, v20, s[2:3]
	s_wait_xcnt 0x0
	v_cmpx_ne_u64_e32 0, v[10:11]
	s_cbranch_execz .LBB0_356
; %bb.330:
	s_mov_b64 s[4:5], 0xfffeffff00010001
	v_mov_b64_e32 v[16:17], 0
	v_max_u64 v[0:1], v[10:11], s[4:5]
	v_min_u64 v[10:11], v[10:11], s[4:5]
	s_movk_i32 s7, 0xffc0
	s_mov_b64 s[4:5], 60
	s_delay_alu instid0(VALU_DEP_2)
	v_add_nc_u64_e32 v[12:13], s[0:1], v[0:1]
	v_not_b32_e32 v15, v1
	v_not_b32_e32 v14, v0
	s_branch .LBB0_333
.LBB0_331:                              ;   in Loop: Header=BB0_333 Depth=1
	s_or_b32 exec_lo, exec_lo, s9
.LBB0_332:                              ;   in Loop: Header=BB0_333 Depth=1
	s_delay_alu instid0(SALU_CYCLE_1) | instskip(NEXT) | instid1(VALU_DEP_1)
	s_or_b32 exec_lo, exec_lo, s8
	v_add_nc_u64_e32 v[18:19], s[0:1], v[16:17]
	s_add_co_i32 s7, s7, 4
	s_add_nc_u64 s[4:5], s[4:5], -4
	s_cmp_lg_u32 s7, 0
	s_delay_alu instid0(VALU_DEP_1)
	v_min_u64 v[16:17], v[16:17], v[18:19]
	s_cbranch_scc0 .LBB0_356
.LBB0_333:                              ; =>This Inner Loop Header: Depth=1
	s_delay_alu instid0(VALU_DEP_1) | instskip(SKIP_4) | instid1(VALU_DEP_3)
	v_lshlrev_b64_e32 v[18:19], 1, v[16:17]
	s_add_co_i32 s8, s4, 3
	v_cmp_gt_i64_e32 vcc_lo, 0, v[16:17]
	v_lshrrev_b64 v[20:21], s8, v[10:11]
	s_mov_b32 s8, exec_lo
	v_add_nc_u64_e32 v[26:27], s[0:1], v[18:19]
	s_delay_alu instid0(VALU_DEP_1) | instskip(NEXT) | instid1(VALU_DEP_2)
	v_dual_cndmask_b32 v17, v19, v27, vcc_lo :: v_dual_bitop2_b32 v20, 1, v20 bitop3:0x40
	v_cndmask_b32_e32 v16, v18, v26, vcc_lo
	s_delay_alu instid0(VALU_DEP_2)
	v_cmpx_eq_u32_e32 1, v20
	s_cbranch_execz .LBB0_339
; %bb.334:                              ;   in Loop: Header=BB0_333 Depth=1
	s_mov_b32 s9, exec_lo
	s_delay_alu instid0(VALU_DEP_2)
	v_cmpx_le_u64_e64 v[16:17], v[14:15]
	s_xor_b32 s9, exec_lo, s9
; %bb.335:                              ;   in Loop: Header=BB0_333 Depth=1
	v_add_nc_u64_e32 v[16:17], v[16:17], v[0:1]
; %bb.336:                              ;   in Loop: Header=BB0_333 Depth=1
	s_and_not1_saveexec_b32 s9, s9
; %bb.337:                              ;   in Loop: Header=BB0_333 Depth=1
	s_delay_alu instid0(VALU_DEP_1)
	v_add_nc_u64_e32 v[16:17], v[12:13], v[16:17]
; %bb.338:                              ;   in Loop: Header=BB0_333 Depth=1
	s_or_b32 exec_lo, exec_lo, s9
.LBB0_339:                              ;   in Loop: Header=BB0_333 Depth=1
	s_delay_alu instid0(SALU_CYCLE_1) | instskip(NEXT) | instid1(VALU_DEP_1)
	s_or_b32 exec_lo, exec_lo, s8
	v_add_nc_u64_e32 v[18:19], s[0:1], v[16:17]
	s_add_co_i32 s8, s4, 2
	s_delay_alu instid0(SALU_CYCLE_1) | instskip(SKIP_1) | instid1(VALU_DEP_2)
	v_lshrrev_b64 v[20:21], s8, v[10:11]
	s_mov_b32 s8, exec_lo
	v_min_u64 v[16:17], v[16:17], v[18:19]
	s_delay_alu instid0(VALU_DEP_1) | instskip(SKIP_1) | instid1(VALU_DEP_2)
	v_lshlrev_b64_e32 v[18:19], 1, v[16:17]
	v_cmp_gt_i64_e32 vcc_lo, 0, v[16:17]
	v_add_nc_u64_e32 v[26:27], s[0:1], v[18:19]
	s_delay_alu instid0(VALU_DEP_1) | instskip(NEXT) | instid1(VALU_DEP_2)
	v_dual_cndmask_b32 v17, v19, v27, vcc_lo :: v_dual_bitop2_b32 v20, 1, v20 bitop3:0x40
	v_cndmask_b32_e32 v16, v18, v26, vcc_lo
	s_delay_alu instid0(VALU_DEP_2)
	v_cmpx_eq_u32_e32 1, v20
	s_cbranch_execz .LBB0_345
; %bb.340:                              ;   in Loop: Header=BB0_333 Depth=1
	s_mov_b32 s9, exec_lo
	s_delay_alu instid0(VALU_DEP_2)
	v_cmpx_le_u64_e64 v[16:17], v[14:15]
	s_xor_b32 s9, exec_lo, s9
; %bb.341:                              ;   in Loop: Header=BB0_333 Depth=1
	v_add_nc_u64_e32 v[16:17], v[16:17], v[0:1]
; %bb.342:                              ;   in Loop: Header=BB0_333 Depth=1
	s_and_not1_saveexec_b32 s9, s9
; %bb.343:                              ;   in Loop: Header=BB0_333 Depth=1
	s_delay_alu instid0(VALU_DEP_1)
	v_add_nc_u64_e32 v[16:17], v[12:13], v[16:17]
; %bb.344:                              ;   in Loop: Header=BB0_333 Depth=1
	s_or_b32 exec_lo, exec_lo, s9
.LBB0_345:                              ;   in Loop: Header=BB0_333 Depth=1
	s_delay_alu instid0(SALU_CYCLE_1) | instskip(NEXT) | instid1(VALU_DEP_1)
	s_or_b32 exec_lo, exec_lo, s8
	v_add_nc_u64_e32 v[18:19], s[0:1], v[16:17]
	s_add_co_i32 s8, s4, 1
	s_delay_alu instid0(SALU_CYCLE_1) | instskip(SKIP_1) | instid1(VALU_DEP_2)
	v_lshrrev_b64 v[20:21], s8, v[10:11]
	s_mov_b32 s8, exec_lo
	v_min_u64 v[16:17], v[16:17], v[18:19]
	s_delay_alu instid0(VALU_DEP_1) | instskip(SKIP_1) | instid1(VALU_DEP_2)
	v_lshlrev_b64_e32 v[18:19], 1, v[16:17]
	v_cmp_gt_i64_e32 vcc_lo, 0, v[16:17]
	v_add_nc_u64_e32 v[26:27], s[0:1], v[18:19]
	s_delay_alu instid0(VALU_DEP_1) | instskip(NEXT) | instid1(VALU_DEP_2)
	v_dual_cndmask_b32 v17, v19, v27, vcc_lo :: v_dual_bitop2_b32 v20, 1, v20 bitop3:0x40
	v_cndmask_b32_e32 v16, v18, v26, vcc_lo
	s_delay_alu instid0(VALU_DEP_2)
	v_cmpx_eq_u32_e32 1, v20
	s_cbranch_execz .LBB0_351
; %bb.346:                              ;   in Loop: Header=BB0_333 Depth=1
	s_mov_b32 s9, exec_lo
	s_delay_alu instid0(VALU_DEP_2)
	v_cmpx_le_u64_e64 v[16:17], v[14:15]
	s_xor_b32 s9, exec_lo, s9
; %bb.347:                              ;   in Loop: Header=BB0_333 Depth=1
	v_add_nc_u64_e32 v[16:17], v[16:17], v[0:1]
; %bb.348:                              ;   in Loop: Header=BB0_333 Depth=1
	s_and_not1_saveexec_b32 s9, s9
; %bb.349:                              ;   in Loop: Header=BB0_333 Depth=1
	s_delay_alu instid0(VALU_DEP_1)
	v_add_nc_u64_e32 v[16:17], v[12:13], v[16:17]
; %bb.350:                              ;   in Loop: Header=BB0_333 Depth=1
	s_or_b32 exec_lo, exec_lo, s9
.LBB0_351:                              ;   in Loop: Header=BB0_333 Depth=1
	s_delay_alu instid0(SALU_CYCLE_1) | instskip(NEXT) | instid1(VALU_DEP_1)
	s_or_b32 exec_lo, exec_lo, s8
	v_add_nc_u64_e32 v[18:19], s[0:1], v[16:17]
	v_lshrrev_b64 v[20:21], s4, v[10:11]
	s_mov_b32 s8, exec_lo
	s_delay_alu instid0(VALU_DEP_2) | instskip(NEXT) | instid1(VALU_DEP_1)
	v_min_u64 v[16:17], v[16:17], v[18:19]
	v_lshlrev_b64_e32 v[18:19], 1, v[16:17]
	v_cmp_gt_i64_e32 vcc_lo, 0, v[16:17]
	s_delay_alu instid0(VALU_DEP_2) | instskip(NEXT) | instid1(VALU_DEP_1)
	v_add_nc_u64_e32 v[26:27], s[0:1], v[18:19]
	v_dual_cndmask_b32 v17, v19, v27, vcc_lo :: v_dual_bitop2_b32 v20, 1, v20 bitop3:0x40
	s_delay_alu instid0(VALU_DEP_2) | instskip(NEXT) | instid1(VALU_DEP_2)
	v_cndmask_b32_e32 v16, v18, v26, vcc_lo
	v_cmpx_eq_u32_e32 1, v20
	s_cbranch_execz .LBB0_332
; %bb.352:                              ;   in Loop: Header=BB0_333 Depth=1
	s_mov_b32 s9, exec_lo
	s_delay_alu instid0(VALU_DEP_2)
	v_cmpx_le_u64_e64 v[16:17], v[14:15]
	s_xor_b32 s9, exec_lo, s9
; %bb.353:                              ;   in Loop: Header=BB0_333 Depth=1
	v_add_nc_u64_e32 v[16:17], v[16:17], v[0:1]
; %bb.354:                              ;   in Loop: Header=BB0_333 Depth=1
	s_and_not1_saveexec_b32 s9, s9
	s_cbranch_execz .LBB0_331
; %bb.355:                              ;   in Loop: Header=BB0_333 Depth=1
	s_delay_alu instid0(VALU_DEP_1)
	v_add_nc_u64_e32 v[16:17], v[12:13], v[16:17]
	s_branch .LBB0_331
.LBB0_356:
	s_or_b32 exec_lo, exec_lo, s6
	s_wait_dscnt 0x1
	v_add_nc_u64_e32 v[0:1], v[8:9], v[6:7]
	s_mov_b64 s[0:1], 0xffffffff
	v_mov_b32_e32 v18, 0
	s_mov_b32 s6, exec_lo
	s_delay_alu instid0(VALU_DEP_2) | instskip(SKIP_1) | instid1(VALU_DEP_2)
	v_add_nc_u64_e32 v[10:11], s[0:1], v[0:1]
	v_cmp_lt_u64_e32 vcc_lo, v[0:1], v[8:9]
	v_dual_cndmask_b32 v1, v1, v11 :: v_dual_cndmask_b32 v0, v0, v10
	s_delay_alu instid0(VALU_DEP_1) | instskip(NEXT) | instid1(VALU_DEP_1)
	v_add_nc_u64_e32 v[10:11], s[0:1], v[0:1]
	v_min_u64 v[0:1], v[10:11], v[0:1]
	s_delay_alu instid0(VALU_DEP_1) | instskip(NEXT) | instid1(VALU_DEP_1)
	v_add_nc_u64_e32 v[10:11], s[0:1], v[0:1]
	v_min_u64 v[10:11], v[10:11], v[0:1]
	v_lshl_or_b32 v0, v23, 2, 0x20004
	global_store_b32 v0, v16, s[2:3]
	s_wait_xcnt 0x0
	v_cmpx_ne_u64_e32 0, v[10:11]
	s_cbranch_execz .LBB0_383
; %bb.357:
	s_mov_b64 s[4:5], 0xfffeffff00010001
	v_mov_b64_e32 v[18:19], 0
	v_max_u64 v[0:1], v[10:11], s[4:5]
	v_min_u64 v[10:11], v[10:11], s[4:5]
	s_movk_i32 s7, 0xffc0
	s_mov_b64 s[4:5], 60
	s_delay_alu instid0(VALU_DEP_2)
	v_add_nc_u64_e32 v[12:13], s[0:1], v[0:1]
	v_not_b32_e32 v15, v1
	v_not_b32_e32 v14, v0
	s_branch .LBB0_360
.LBB0_358:                              ;   in Loop: Header=BB0_360 Depth=1
	s_or_b32 exec_lo, exec_lo, s9
.LBB0_359:                              ;   in Loop: Header=BB0_360 Depth=1
	s_delay_alu instid0(SALU_CYCLE_1) | instskip(NEXT) | instid1(VALU_DEP_1)
	s_or_b32 exec_lo, exec_lo, s8
	v_add_nc_u64_e32 v[18:19], s[0:1], v[16:17]
	s_add_co_i32 s7, s7, 4
	s_add_nc_u64 s[4:5], s[4:5], -4
	s_cmp_lg_u32 s7, 0
	s_delay_alu instid0(VALU_DEP_1)
	v_min_u64 v[18:19], v[16:17], v[18:19]
	s_cbranch_scc0 .LBB0_383
.LBB0_360:                              ; =>This Inner Loop Header: Depth=1
	s_delay_alu instid0(VALU_DEP_1) | instskip(SKIP_4) | instid1(VALU_DEP_3)
	v_lshlrev_b64_e32 v[16:17], 1, v[18:19]
	s_add_co_i32 s8, s4, 3
	v_cmp_gt_i64_e32 vcc_lo, 0, v[18:19]
	v_lshrrev_b64 v[20:21], s8, v[10:11]
	s_mov_b32 s8, exec_lo
	v_add_nc_u64_e32 v[26:27], s[0:1], v[16:17]
	s_delay_alu instid0(VALU_DEP_1) | instskip(NEXT) | instid1(VALU_DEP_2)
	v_dual_cndmask_b32 v17, v17, v27, vcc_lo :: v_dual_bitop2_b32 v18, 1, v20 bitop3:0x40
	v_cndmask_b32_e32 v16, v16, v26, vcc_lo
	s_delay_alu instid0(VALU_DEP_2)
	v_cmpx_eq_u32_e32 1, v18
	s_cbranch_execz .LBB0_366
; %bb.361:                              ;   in Loop: Header=BB0_360 Depth=1
	s_mov_b32 s9, exec_lo
	s_delay_alu instid0(VALU_DEP_2)
	v_cmpx_le_u64_e64 v[16:17], v[14:15]
	s_xor_b32 s9, exec_lo, s9
; %bb.362:                              ;   in Loop: Header=BB0_360 Depth=1
	v_add_nc_u64_e32 v[16:17], v[16:17], v[0:1]
; %bb.363:                              ;   in Loop: Header=BB0_360 Depth=1
	s_and_not1_saveexec_b32 s9, s9
; %bb.364:                              ;   in Loop: Header=BB0_360 Depth=1
	s_delay_alu instid0(VALU_DEP_1)
	v_add_nc_u64_e32 v[16:17], v[12:13], v[16:17]
; %bb.365:                              ;   in Loop: Header=BB0_360 Depth=1
	s_or_b32 exec_lo, exec_lo, s9
.LBB0_366:                              ;   in Loop: Header=BB0_360 Depth=1
	s_delay_alu instid0(SALU_CYCLE_1) | instskip(NEXT) | instid1(VALU_DEP_1)
	s_or_b32 exec_lo, exec_lo, s8
	v_add_nc_u64_e32 v[18:19], s[0:1], v[16:17]
	s_add_co_i32 s8, s4, 2
	s_delay_alu instid0(SALU_CYCLE_1) | instskip(SKIP_1) | instid1(VALU_DEP_2)
	v_lshrrev_b64 v[20:21], s8, v[10:11]
	s_mov_b32 s8, exec_lo
	v_min_u64 v[16:17], v[16:17], v[18:19]
	s_delay_alu instid0(VALU_DEP_1) | instskip(SKIP_1) | instid1(VALU_DEP_2)
	v_lshlrev_b64_e32 v[18:19], 1, v[16:17]
	v_cmp_gt_i64_e32 vcc_lo, 0, v[16:17]
	v_add_nc_u64_e32 v[26:27], s[0:1], v[18:19]
	s_delay_alu instid0(VALU_DEP_1) | instskip(NEXT) | instid1(VALU_DEP_2)
	v_dual_cndmask_b32 v17, v19, v27, vcc_lo :: v_dual_bitop2_b32 v20, 1, v20 bitop3:0x40
	v_cndmask_b32_e32 v16, v18, v26, vcc_lo
	s_delay_alu instid0(VALU_DEP_2)
	v_cmpx_eq_u32_e32 1, v20
	s_cbranch_execz .LBB0_372
; %bb.367:                              ;   in Loop: Header=BB0_360 Depth=1
	s_mov_b32 s9, exec_lo
	s_delay_alu instid0(VALU_DEP_2)
	v_cmpx_le_u64_e64 v[16:17], v[14:15]
	s_xor_b32 s9, exec_lo, s9
; %bb.368:                              ;   in Loop: Header=BB0_360 Depth=1
	v_add_nc_u64_e32 v[16:17], v[16:17], v[0:1]
; %bb.369:                              ;   in Loop: Header=BB0_360 Depth=1
	s_and_not1_saveexec_b32 s9, s9
; %bb.370:                              ;   in Loop: Header=BB0_360 Depth=1
	s_delay_alu instid0(VALU_DEP_1)
	v_add_nc_u64_e32 v[16:17], v[12:13], v[16:17]
; %bb.371:                              ;   in Loop: Header=BB0_360 Depth=1
	s_or_b32 exec_lo, exec_lo, s9
.LBB0_372:                              ;   in Loop: Header=BB0_360 Depth=1
	s_delay_alu instid0(SALU_CYCLE_1) | instskip(NEXT) | instid1(VALU_DEP_1)
	s_or_b32 exec_lo, exec_lo, s8
	v_add_nc_u64_e32 v[18:19], s[0:1], v[16:17]
	s_add_co_i32 s8, s4, 1
	s_delay_alu instid0(SALU_CYCLE_1) | instskip(SKIP_1) | instid1(VALU_DEP_2)
	v_lshrrev_b64 v[20:21], s8, v[10:11]
	s_mov_b32 s8, exec_lo
	v_min_u64 v[16:17], v[16:17], v[18:19]
	s_delay_alu instid0(VALU_DEP_1) | instskip(SKIP_1) | instid1(VALU_DEP_2)
	v_lshlrev_b64_e32 v[18:19], 1, v[16:17]
	v_cmp_gt_i64_e32 vcc_lo, 0, v[16:17]
	v_add_nc_u64_e32 v[26:27], s[0:1], v[18:19]
	s_delay_alu instid0(VALU_DEP_1) | instskip(NEXT) | instid1(VALU_DEP_2)
	v_dual_cndmask_b32 v17, v19, v27, vcc_lo :: v_dual_bitop2_b32 v20, 1, v20 bitop3:0x40
	v_cndmask_b32_e32 v16, v18, v26, vcc_lo
	s_delay_alu instid0(VALU_DEP_2)
	v_cmpx_eq_u32_e32 1, v20
	s_cbranch_execz .LBB0_378
; %bb.373:                              ;   in Loop: Header=BB0_360 Depth=1
	s_mov_b32 s9, exec_lo
	s_delay_alu instid0(VALU_DEP_2)
	v_cmpx_le_u64_e64 v[16:17], v[14:15]
	s_xor_b32 s9, exec_lo, s9
; %bb.374:                              ;   in Loop: Header=BB0_360 Depth=1
	v_add_nc_u64_e32 v[16:17], v[16:17], v[0:1]
; %bb.375:                              ;   in Loop: Header=BB0_360 Depth=1
	s_and_not1_saveexec_b32 s9, s9
; %bb.376:                              ;   in Loop: Header=BB0_360 Depth=1
	s_delay_alu instid0(VALU_DEP_1)
	v_add_nc_u64_e32 v[16:17], v[12:13], v[16:17]
; %bb.377:                              ;   in Loop: Header=BB0_360 Depth=1
	s_or_b32 exec_lo, exec_lo, s9
.LBB0_378:                              ;   in Loop: Header=BB0_360 Depth=1
	s_delay_alu instid0(SALU_CYCLE_1) | instskip(NEXT) | instid1(VALU_DEP_1)
	s_or_b32 exec_lo, exec_lo, s8
	v_add_nc_u64_e32 v[18:19], s[0:1], v[16:17]
	v_lshrrev_b64 v[20:21], s4, v[10:11]
	s_mov_b32 s8, exec_lo
	s_delay_alu instid0(VALU_DEP_2) | instskip(NEXT) | instid1(VALU_DEP_1)
	v_min_u64 v[16:17], v[16:17], v[18:19]
	v_lshlrev_b64_e32 v[18:19], 1, v[16:17]
	v_cmp_gt_i64_e32 vcc_lo, 0, v[16:17]
	s_delay_alu instid0(VALU_DEP_2) | instskip(NEXT) | instid1(VALU_DEP_1)
	v_add_nc_u64_e32 v[26:27], s[0:1], v[18:19]
	v_dual_cndmask_b32 v17, v19, v27, vcc_lo :: v_dual_bitop2_b32 v20, 1, v20 bitop3:0x40
	s_delay_alu instid0(VALU_DEP_2) | instskip(NEXT) | instid1(VALU_DEP_2)
	v_cndmask_b32_e32 v16, v18, v26, vcc_lo
	v_cmpx_eq_u32_e32 1, v20
	s_cbranch_execz .LBB0_359
; %bb.379:                              ;   in Loop: Header=BB0_360 Depth=1
	s_mov_b32 s9, exec_lo
	s_delay_alu instid0(VALU_DEP_2)
	v_cmpx_le_u64_e64 v[16:17], v[14:15]
	s_xor_b32 s9, exec_lo, s9
; %bb.380:                              ;   in Loop: Header=BB0_360 Depth=1
	v_add_nc_u64_e32 v[16:17], v[16:17], v[0:1]
; %bb.381:                              ;   in Loop: Header=BB0_360 Depth=1
	s_and_not1_saveexec_b32 s9, s9
	s_cbranch_execz .LBB0_358
; %bb.382:                              ;   in Loop: Header=BB0_360 Depth=1
	s_delay_alu instid0(VALU_DEP_1)
	v_add_nc_u64_e32 v[16:17], v[12:13], v[16:17]
	s_branch .LBB0_358
.LBB0_383:
	s_or_b32 exec_lo, exec_lo, s6
	v_sub_nc_u64_e32 v[0:1], v[6:7], v[8:9]
	v_cmp_lt_u64_e32 vcc_lo, v[6:7], v[8:9]
	s_mov_b64 s[0:1], 0xffffffff
	v_mov_b32_e32 v12, 0
	s_mov_b32 s6, exec_lo
	s_delay_alu instid0(VALU_DEP_3) | instskip(NEXT) | instid1(VALU_DEP_1)
	v_add_nc_u64_e32 v[10:11], 0xffffffff00000001, v[0:1]
	v_dual_cndmask_b32 v1, v1, v11 :: v_dual_cndmask_b32 v0, v0, v10
	s_delay_alu instid0(VALU_DEP_1) | instskip(NEXT) | instid1(VALU_DEP_1)
	v_add_nc_u64_e32 v[6:7], s[0:1], v[0:1]
	v_min_u64 v[6:7], v[6:7], v[0:1]
	v_lshl_or_b32 v0, v24, 2, 8
	global_store_b32 v0, v18, s[2:3]
	s_wait_xcnt 0x0
	v_cmpx_ne_u64_e32 0, v[6:7]
	s_cbranch_execz .LBB0_410
; %bb.384:
	s_mov_b64 s[4:5], 0xfffeffff00010001
	v_mov_b64_e32 v[12:13], 0
	v_max_u64 v[0:1], v[6:7], s[4:5]
	v_min_u64 v[6:7], v[6:7], s[4:5]
	s_movk_i32 s7, 0xffc0
	s_mov_b64 s[4:5], 60
	s_delay_alu instid0(VALU_DEP_2)
	v_add_nc_u64_e32 v[8:9], s[0:1], v[0:1]
	v_not_b32_e32 v11, v1
	v_not_b32_e32 v10, v0
	s_branch .LBB0_387
.LBB0_385:                              ;   in Loop: Header=BB0_387 Depth=1
	s_or_b32 exec_lo, exec_lo, s9
.LBB0_386:                              ;   in Loop: Header=BB0_387 Depth=1
	s_delay_alu instid0(SALU_CYCLE_1) | instskip(NEXT) | instid1(VALU_DEP_1)
	s_or_b32 exec_lo, exec_lo, s8
	v_add_nc_u64_e32 v[14:15], s[0:1], v[12:13]
	s_add_co_i32 s7, s7, 4
	s_add_nc_u64 s[4:5], s[4:5], -4
	s_cmp_lg_u32 s7, 0
	s_delay_alu instid0(VALU_DEP_1)
	v_min_u64 v[12:13], v[12:13], v[14:15]
	s_cbranch_scc0 .LBB0_410
.LBB0_387:                              ; =>This Inner Loop Header: Depth=1
	s_delay_alu instid0(VALU_DEP_1) | instskip(SKIP_4) | instid1(VALU_DEP_3)
	v_lshlrev_b64_e32 v[14:15], 1, v[12:13]
	s_add_co_i32 s8, s4, 3
	v_cmp_gt_i64_e32 vcc_lo, 0, v[12:13]
	v_lshrrev_b64 v[16:17], s8, v[6:7]
	s_mov_b32 s8, exec_lo
	v_add_nc_u64_e32 v[18:19], s[0:1], v[14:15]
	s_delay_alu instid0(VALU_DEP_1) | instskip(NEXT) | instid1(VALU_DEP_2)
	v_dual_cndmask_b32 v13, v15, v19, vcc_lo :: v_dual_bitop2_b32 v16, 1, v16 bitop3:0x40
	v_cndmask_b32_e32 v12, v14, v18, vcc_lo
	s_delay_alu instid0(VALU_DEP_2)
	v_cmpx_eq_u32_e32 1, v16
	s_cbranch_execz .LBB0_393
; %bb.388:                              ;   in Loop: Header=BB0_387 Depth=1
	s_mov_b32 s9, exec_lo
	s_delay_alu instid0(VALU_DEP_2)
	v_cmpx_le_u64_e64 v[12:13], v[10:11]
	s_xor_b32 s9, exec_lo, s9
; %bb.389:                              ;   in Loop: Header=BB0_387 Depth=1
	v_add_nc_u64_e32 v[12:13], v[12:13], v[0:1]
; %bb.390:                              ;   in Loop: Header=BB0_387 Depth=1
	s_and_not1_saveexec_b32 s9, s9
; %bb.391:                              ;   in Loop: Header=BB0_387 Depth=1
	s_delay_alu instid0(VALU_DEP_1)
	v_add_nc_u64_e32 v[12:13], v[8:9], v[12:13]
; %bb.392:                              ;   in Loop: Header=BB0_387 Depth=1
	s_or_b32 exec_lo, exec_lo, s9
.LBB0_393:                              ;   in Loop: Header=BB0_387 Depth=1
	s_delay_alu instid0(SALU_CYCLE_1) | instskip(NEXT) | instid1(VALU_DEP_1)
	s_or_b32 exec_lo, exec_lo, s8
	v_add_nc_u64_e32 v[14:15], s[0:1], v[12:13]
	s_add_co_i32 s8, s4, 2
	s_delay_alu instid0(SALU_CYCLE_1) | instskip(SKIP_1) | instid1(VALU_DEP_2)
	v_lshrrev_b64 v[16:17], s8, v[6:7]
	s_mov_b32 s8, exec_lo
	v_min_u64 v[12:13], v[12:13], v[14:15]
	s_delay_alu instid0(VALU_DEP_1) | instskip(SKIP_1) | instid1(VALU_DEP_2)
	v_lshlrev_b64_e32 v[14:15], 1, v[12:13]
	v_cmp_gt_i64_e32 vcc_lo, 0, v[12:13]
	v_add_nc_u64_e32 v[18:19], s[0:1], v[14:15]
	s_delay_alu instid0(VALU_DEP_1) | instskip(NEXT) | instid1(VALU_DEP_2)
	v_dual_cndmask_b32 v13, v15, v19, vcc_lo :: v_dual_bitop2_b32 v16, 1, v16 bitop3:0x40
	v_cndmask_b32_e32 v12, v14, v18, vcc_lo
	s_delay_alu instid0(VALU_DEP_2)
	v_cmpx_eq_u32_e32 1, v16
	s_cbranch_execz .LBB0_399
; %bb.394:                              ;   in Loop: Header=BB0_387 Depth=1
	s_mov_b32 s9, exec_lo
	s_delay_alu instid0(VALU_DEP_2)
	v_cmpx_le_u64_e64 v[12:13], v[10:11]
	s_xor_b32 s9, exec_lo, s9
; %bb.395:                              ;   in Loop: Header=BB0_387 Depth=1
	v_add_nc_u64_e32 v[12:13], v[12:13], v[0:1]
; %bb.396:                              ;   in Loop: Header=BB0_387 Depth=1
	s_and_not1_saveexec_b32 s9, s9
; %bb.397:                              ;   in Loop: Header=BB0_387 Depth=1
	s_delay_alu instid0(VALU_DEP_1)
	v_add_nc_u64_e32 v[12:13], v[8:9], v[12:13]
; %bb.398:                              ;   in Loop: Header=BB0_387 Depth=1
	s_or_b32 exec_lo, exec_lo, s9
.LBB0_399:                              ;   in Loop: Header=BB0_387 Depth=1
	s_delay_alu instid0(SALU_CYCLE_1) | instskip(NEXT) | instid1(VALU_DEP_1)
	s_or_b32 exec_lo, exec_lo, s8
	v_add_nc_u64_e32 v[14:15], s[0:1], v[12:13]
	s_add_co_i32 s8, s4, 1
	s_delay_alu instid0(SALU_CYCLE_1) | instskip(SKIP_1) | instid1(VALU_DEP_2)
	v_lshrrev_b64 v[16:17], s8, v[6:7]
	s_mov_b32 s8, exec_lo
	v_min_u64 v[12:13], v[12:13], v[14:15]
	s_delay_alu instid0(VALU_DEP_1) | instskip(SKIP_1) | instid1(VALU_DEP_2)
	v_lshlrev_b64_e32 v[14:15], 1, v[12:13]
	v_cmp_gt_i64_e32 vcc_lo, 0, v[12:13]
	v_add_nc_u64_e32 v[18:19], s[0:1], v[14:15]
	s_delay_alu instid0(VALU_DEP_1) | instskip(NEXT) | instid1(VALU_DEP_2)
	v_dual_cndmask_b32 v13, v15, v19, vcc_lo :: v_dual_bitop2_b32 v16, 1, v16 bitop3:0x40
	v_cndmask_b32_e32 v12, v14, v18, vcc_lo
	s_delay_alu instid0(VALU_DEP_2)
	v_cmpx_eq_u32_e32 1, v16
	s_cbranch_execz .LBB0_405
; %bb.400:                              ;   in Loop: Header=BB0_387 Depth=1
	s_mov_b32 s9, exec_lo
	s_delay_alu instid0(VALU_DEP_2)
	v_cmpx_le_u64_e64 v[12:13], v[10:11]
	s_xor_b32 s9, exec_lo, s9
; %bb.401:                              ;   in Loop: Header=BB0_387 Depth=1
	v_add_nc_u64_e32 v[12:13], v[12:13], v[0:1]
; %bb.402:                              ;   in Loop: Header=BB0_387 Depth=1
	s_and_not1_saveexec_b32 s9, s9
; %bb.403:                              ;   in Loop: Header=BB0_387 Depth=1
	s_delay_alu instid0(VALU_DEP_1)
	v_add_nc_u64_e32 v[12:13], v[8:9], v[12:13]
; %bb.404:                              ;   in Loop: Header=BB0_387 Depth=1
	s_or_b32 exec_lo, exec_lo, s9
.LBB0_405:                              ;   in Loop: Header=BB0_387 Depth=1
	s_delay_alu instid0(SALU_CYCLE_1) | instskip(NEXT) | instid1(VALU_DEP_1)
	s_or_b32 exec_lo, exec_lo, s8
	v_add_nc_u64_e32 v[14:15], s[0:1], v[12:13]
	v_lshrrev_b64 v[16:17], s4, v[6:7]
	s_mov_b32 s8, exec_lo
	s_delay_alu instid0(VALU_DEP_2) | instskip(NEXT) | instid1(VALU_DEP_1)
	v_min_u64 v[12:13], v[12:13], v[14:15]
	v_lshlrev_b64_e32 v[14:15], 1, v[12:13]
	v_cmp_gt_i64_e32 vcc_lo, 0, v[12:13]
	s_delay_alu instid0(VALU_DEP_2) | instskip(NEXT) | instid1(VALU_DEP_1)
	v_add_nc_u64_e32 v[18:19], s[0:1], v[14:15]
	v_dual_cndmask_b32 v13, v15, v19, vcc_lo :: v_dual_bitop2_b32 v16, 1, v16 bitop3:0x40
	s_delay_alu instid0(VALU_DEP_2) | instskip(NEXT) | instid1(VALU_DEP_2)
	v_cndmask_b32_e32 v12, v14, v18, vcc_lo
	v_cmpx_eq_u32_e32 1, v16
	s_cbranch_execz .LBB0_386
; %bb.406:                              ;   in Loop: Header=BB0_387 Depth=1
	s_mov_b32 s9, exec_lo
	s_delay_alu instid0(VALU_DEP_2)
	v_cmpx_le_u64_e64 v[12:13], v[10:11]
	s_xor_b32 s9, exec_lo, s9
; %bb.407:                              ;   in Loop: Header=BB0_387 Depth=1
	v_add_nc_u64_e32 v[12:13], v[12:13], v[0:1]
; %bb.408:                              ;   in Loop: Header=BB0_387 Depth=1
	s_and_not1_saveexec_b32 s9, s9
	s_cbranch_execz .LBB0_385
; %bb.409:                              ;   in Loop: Header=BB0_387 Depth=1
	s_delay_alu instid0(VALU_DEP_1)
	v_add_nc_u64_e32 v[12:13], v[8:9], v[12:13]
	s_branch .LBB0_385
.LBB0_410:
	s_or_b32 exec_lo, exec_lo, s6
	s_wait_dscnt 0x0
	v_add_nc_u64_e32 v[0:1], v[4:5], v[2:3]
	s_mov_b64 s[0:1], 0xffffffff
	v_mov_b32_e32 v14, 0
	s_mov_b32 s6, exec_lo
	s_delay_alu instid0(VALU_DEP_2) | instskip(SKIP_1) | instid1(VALU_DEP_2)
	v_add_nc_u64_e32 v[6:7], s[0:1], v[0:1]
	v_cmp_lt_u64_e32 vcc_lo, v[0:1], v[4:5]
	v_dual_cndmask_b32 v1, v1, v7 :: v_dual_cndmask_b32 v0, v0, v6
	s_delay_alu instid0(VALU_DEP_1) | instskip(NEXT) | instid1(VALU_DEP_1)
	v_add_nc_u64_e32 v[6:7], s[0:1], v[0:1]
	v_min_u64 v[0:1], v[6:7], v[0:1]
	s_delay_alu instid0(VALU_DEP_1) | instskip(NEXT) | instid1(VALU_DEP_1)
	v_add_nc_u64_e32 v[6:7], s[0:1], v[0:1]
	v_min_u64 v[6:7], v[6:7], v[0:1]
	v_lshl_or_b32 v0, v23, 2, 0x20008
	global_store_b32 v0, v12, s[2:3]
	s_wait_xcnt 0x0
	v_cmpx_ne_u64_e32 0, v[6:7]
	s_cbranch_execz .LBB0_437
; %bb.411:
	s_mov_b64 s[4:5], 0xfffeffff00010001
	v_mov_b64_e32 v[14:15], 0
	v_max_u64 v[0:1], v[6:7], s[4:5]
	v_min_u64 v[6:7], v[6:7], s[4:5]
	s_movk_i32 s7, 0xffc0
	s_mov_b64 s[4:5], 60
	s_delay_alu instid0(VALU_DEP_2)
	v_add_nc_u64_e32 v[8:9], s[0:1], v[0:1]
	v_not_b32_e32 v11, v1
	v_not_b32_e32 v10, v0
	s_branch .LBB0_414
.LBB0_412:                              ;   in Loop: Header=BB0_414 Depth=1
	s_or_b32 exec_lo, exec_lo, s9
.LBB0_413:                              ;   in Loop: Header=BB0_414 Depth=1
	s_delay_alu instid0(SALU_CYCLE_1) | instskip(NEXT) | instid1(VALU_DEP_1)
	s_or_b32 exec_lo, exec_lo, s8
	v_add_nc_u64_e32 v[14:15], s[0:1], v[12:13]
	s_add_co_i32 s7, s7, 4
	s_add_nc_u64 s[4:5], s[4:5], -4
	s_cmp_lg_u32 s7, 0
	s_delay_alu instid0(VALU_DEP_1)
	v_min_u64 v[14:15], v[12:13], v[14:15]
	s_cbranch_scc0 .LBB0_437
.LBB0_414:                              ; =>This Inner Loop Header: Depth=1
	s_delay_alu instid0(VALU_DEP_1) | instskip(SKIP_4) | instid1(VALU_DEP_3)
	v_lshlrev_b64_e32 v[12:13], 1, v[14:15]
	s_add_co_i32 s8, s4, 3
	v_cmp_gt_i64_e32 vcc_lo, 0, v[14:15]
	v_lshrrev_b64 v[16:17], s8, v[6:7]
	s_mov_b32 s8, exec_lo
	v_add_nc_u64_e32 v[18:19], s[0:1], v[12:13]
	s_delay_alu instid0(VALU_DEP_1) | instskip(NEXT) | instid1(VALU_DEP_2)
	v_dual_cndmask_b32 v13, v13, v19, vcc_lo :: v_dual_bitop2_b32 v14, 1, v16 bitop3:0x40
	v_cndmask_b32_e32 v12, v12, v18, vcc_lo
	s_delay_alu instid0(VALU_DEP_2)
	v_cmpx_eq_u32_e32 1, v14
	s_cbranch_execz .LBB0_420
; %bb.415:                              ;   in Loop: Header=BB0_414 Depth=1
	s_mov_b32 s9, exec_lo
	s_delay_alu instid0(VALU_DEP_2)
	v_cmpx_le_u64_e64 v[12:13], v[10:11]
	s_xor_b32 s9, exec_lo, s9
; %bb.416:                              ;   in Loop: Header=BB0_414 Depth=1
	v_add_nc_u64_e32 v[12:13], v[12:13], v[0:1]
; %bb.417:                              ;   in Loop: Header=BB0_414 Depth=1
	s_and_not1_saveexec_b32 s9, s9
; %bb.418:                              ;   in Loop: Header=BB0_414 Depth=1
	s_delay_alu instid0(VALU_DEP_1)
	v_add_nc_u64_e32 v[12:13], v[8:9], v[12:13]
; %bb.419:                              ;   in Loop: Header=BB0_414 Depth=1
	s_or_b32 exec_lo, exec_lo, s9
.LBB0_420:                              ;   in Loop: Header=BB0_414 Depth=1
	s_delay_alu instid0(SALU_CYCLE_1) | instskip(NEXT) | instid1(VALU_DEP_1)
	s_or_b32 exec_lo, exec_lo, s8
	v_add_nc_u64_e32 v[14:15], s[0:1], v[12:13]
	s_add_co_i32 s8, s4, 2
	s_delay_alu instid0(SALU_CYCLE_1) | instskip(SKIP_1) | instid1(VALU_DEP_2)
	v_lshrrev_b64 v[16:17], s8, v[6:7]
	s_mov_b32 s8, exec_lo
	v_min_u64 v[12:13], v[12:13], v[14:15]
	s_delay_alu instid0(VALU_DEP_1) | instskip(SKIP_1) | instid1(VALU_DEP_2)
	v_lshlrev_b64_e32 v[14:15], 1, v[12:13]
	v_cmp_gt_i64_e32 vcc_lo, 0, v[12:13]
	v_add_nc_u64_e32 v[18:19], s[0:1], v[14:15]
	s_delay_alu instid0(VALU_DEP_1) | instskip(NEXT) | instid1(VALU_DEP_2)
	v_dual_cndmask_b32 v13, v15, v19, vcc_lo :: v_dual_bitop2_b32 v16, 1, v16 bitop3:0x40
	v_cndmask_b32_e32 v12, v14, v18, vcc_lo
	s_delay_alu instid0(VALU_DEP_2)
	v_cmpx_eq_u32_e32 1, v16
	s_cbranch_execz .LBB0_426
; %bb.421:                              ;   in Loop: Header=BB0_414 Depth=1
	s_mov_b32 s9, exec_lo
	s_delay_alu instid0(VALU_DEP_2)
	v_cmpx_le_u64_e64 v[12:13], v[10:11]
	s_xor_b32 s9, exec_lo, s9
; %bb.422:                              ;   in Loop: Header=BB0_414 Depth=1
	v_add_nc_u64_e32 v[12:13], v[12:13], v[0:1]
; %bb.423:                              ;   in Loop: Header=BB0_414 Depth=1
	s_and_not1_saveexec_b32 s9, s9
; %bb.424:                              ;   in Loop: Header=BB0_414 Depth=1
	s_delay_alu instid0(VALU_DEP_1)
	v_add_nc_u64_e32 v[12:13], v[8:9], v[12:13]
; %bb.425:                              ;   in Loop: Header=BB0_414 Depth=1
	s_or_b32 exec_lo, exec_lo, s9
.LBB0_426:                              ;   in Loop: Header=BB0_414 Depth=1
	s_delay_alu instid0(SALU_CYCLE_1) | instskip(NEXT) | instid1(VALU_DEP_1)
	s_or_b32 exec_lo, exec_lo, s8
	v_add_nc_u64_e32 v[14:15], s[0:1], v[12:13]
	s_add_co_i32 s8, s4, 1
	s_delay_alu instid0(SALU_CYCLE_1) | instskip(SKIP_1) | instid1(VALU_DEP_2)
	v_lshrrev_b64 v[16:17], s8, v[6:7]
	s_mov_b32 s8, exec_lo
	v_min_u64 v[12:13], v[12:13], v[14:15]
	s_delay_alu instid0(VALU_DEP_1) | instskip(SKIP_1) | instid1(VALU_DEP_2)
	v_lshlrev_b64_e32 v[14:15], 1, v[12:13]
	v_cmp_gt_i64_e32 vcc_lo, 0, v[12:13]
	v_add_nc_u64_e32 v[18:19], s[0:1], v[14:15]
	s_delay_alu instid0(VALU_DEP_1) | instskip(NEXT) | instid1(VALU_DEP_2)
	v_dual_cndmask_b32 v13, v15, v19, vcc_lo :: v_dual_bitop2_b32 v16, 1, v16 bitop3:0x40
	v_cndmask_b32_e32 v12, v14, v18, vcc_lo
	s_delay_alu instid0(VALU_DEP_2)
	v_cmpx_eq_u32_e32 1, v16
	s_cbranch_execz .LBB0_432
; %bb.427:                              ;   in Loop: Header=BB0_414 Depth=1
	s_mov_b32 s9, exec_lo
	s_delay_alu instid0(VALU_DEP_2)
	v_cmpx_le_u64_e64 v[12:13], v[10:11]
	s_xor_b32 s9, exec_lo, s9
; %bb.428:                              ;   in Loop: Header=BB0_414 Depth=1
	v_add_nc_u64_e32 v[12:13], v[12:13], v[0:1]
; %bb.429:                              ;   in Loop: Header=BB0_414 Depth=1
	s_and_not1_saveexec_b32 s9, s9
; %bb.430:                              ;   in Loop: Header=BB0_414 Depth=1
	s_delay_alu instid0(VALU_DEP_1)
	v_add_nc_u64_e32 v[12:13], v[8:9], v[12:13]
; %bb.431:                              ;   in Loop: Header=BB0_414 Depth=1
	s_or_b32 exec_lo, exec_lo, s9
.LBB0_432:                              ;   in Loop: Header=BB0_414 Depth=1
	s_delay_alu instid0(SALU_CYCLE_1) | instskip(NEXT) | instid1(VALU_DEP_1)
	s_or_b32 exec_lo, exec_lo, s8
	v_add_nc_u64_e32 v[14:15], s[0:1], v[12:13]
	v_lshrrev_b64 v[16:17], s4, v[6:7]
	s_mov_b32 s8, exec_lo
	s_delay_alu instid0(VALU_DEP_2) | instskip(NEXT) | instid1(VALU_DEP_1)
	v_min_u64 v[12:13], v[12:13], v[14:15]
	v_lshlrev_b64_e32 v[14:15], 1, v[12:13]
	v_cmp_gt_i64_e32 vcc_lo, 0, v[12:13]
	s_delay_alu instid0(VALU_DEP_2) | instskip(NEXT) | instid1(VALU_DEP_1)
	v_add_nc_u64_e32 v[18:19], s[0:1], v[14:15]
	v_dual_cndmask_b32 v13, v15, v19, vcc_lo :: v_dual_bitop2_b32 v16, 1, v16 bitop3:0x40
	s_delay_alu instid0(VALU_DEP_2) | instskip(NEXT) | instid1(VALU_DEP_2)
	v_cndmask_b32_e32 v12, v14, v18, vcc_lo
	v_cmpx_eq_u32_e32 1, v16
	s_cbranch_execz .LBB0_413
; %bb.433:                              ;   in Loop: Header=BB0_414 Depth=1
	s_mov_b32 s9, exec_lo
	s_delay_alu instid0(VALU_DEP_2)
	v_cmpx_le_u64_e64 v[12:13], v[10:11]
	s_xor_b32 s9, exec_lo, s9
; %bb.434:                              ;   in Loop: Header=BB0_414 Depth=1
	v_add_nc_u64_e32 v[12:13], v[12:13], v[0:1]
; %bb.435:                              ;   in Loop: Header=BB0_414 Depth=1
	s_and_not1_saveexec_b32 s9, s9
	s_cbranch_execz .LBB0_412
; %bb.436:                              ;   in Loop: Header=BB0_414 Depth=1
	s_delay_alu instid0(VALU_DEP_1)
	v_add_nc_u64_e32 v[12:13], v[8:9], v[12:13]
	s_branch .LBB0_412
.LBB0_437:
	s_or_b32 exec_lo, exec_lo, s6
	v_sub_nc_u64_e32 v[0:1], v[2:3], v[4:5]
	v_cmp_lt_u64_e32 vcc_lo, v[2:3], v[4:5]
	s_mov_b64 s[0:1], 0xffffffff
	v_mov_b32_e32 v8, 0
	s_mov_b32 s6, exec_lo
	s_delay_alu instid0(VALU_DEP_3) | instskip(NEXT) | instid1(VALU_DEP_1)
	v_add_nc_u64_e32 v[6:7], 0xffffffff00000001, v[0:1]
	v_dual_cndmask_b32 v1, v1, v7 :: v_dual_cndmask_b32 v0, v0, v6
	s_delay_alu instid0(VALU_DEP_1) | instskip(NEXT) | instid1(VALU_DEP_1)
	v_add_nc_u64_e32 v[2:3], s[0:1], v[0:1]
	v_min_u64 v[2:3], v[2:3], v[0:1]
	v_lshl_or_b32 v0, v24, 2, 12
	global_store_b32 v0, v14, s[2:3]
	s_wait_xcnt 0x0
	v_cmpx_ne_u64_e32 0, v[2:3]
	s_cbranch_execz .LBB0_464
; %bb.438:
	s_mov_b64 s[4:5], 0xfffeffff00010001
	v_mov_b64_e32 v[8:9], 0
	v_max_u64 v[0:1], v[2:3], s[4:5]
	v_min_u64 v[2:3], v[2:3], s[4:5]
	s_movk_i32 s7, 0xffc0
	s_mov_b64 s[4:5], 60
	s_delay_alu instid0(VALU_DEP_2)
	v_add_nc_u64_e32 v[4:5], s[0:1], v[0:1]
	v_not_b32_e32 v7, v1
	v_not_b32_e32 v6, v0
	s_branch .LBB0_441
.LBB0_439:                              ;   in Loop: Header=BB0_441 Depth=1
	s_or_b32 exec_lo, exec_lo, s9
.LBB0_440:                              ;   in Loop: Header=BB0_441 Depth=1
	s_delay_alu instid0(SALU_CYCLE_1) | instskip(NEXT) | instid1(VALU_DEP_1)
	s_or_b32 exec_lo, exec_lo, s8
	v_add_nc_u64_e32 v[10:11], s[0:1], v[8:9]
	s_add_co_i32 s7, s7, 4
	s_add_nc_u64 s[4:5], s[4:5], -4
	s_cmp_lg_u32 s7, 0
	s_delay_alu instid0(VALU_DEP_1)
	v_min_u64 v[8:9], v[8:9], v[10:11]
	s_cbranch_scc0 .LBB0_464
.LBB0_441:                              ; =>This Inner Loop Header: Depth=1
	s_delay_alu instid0(VALU_DEP_1) | instskip(SKIP_4) | instid1(VALU_DEP_3)
	v_lshlrev_b64_e32 v[10:11], 1, v[8:9]
	s_add_co_i32 s8, s4, 3
	v_cmp_gt_i64_e32 vcc_lo, 0, v[8:9]
	v_lshrrev_b64 v[12:13], s8, v[2:3]
	s_mov_b32 s8, exec_lo
	v_add_nc_u64_e32 v[14:15], s[0:1], v[10:11]
	s_delay_alu instid0(VALU_DEP_1) | instskip(NEXT) | instid1(VALU_DEP_2)
	v_dual_cndmask_b32 v9, v11, v15, vcc_lo :: v_dual_bitop2_b32 v12, 1, v12 bitop3:0x40
	v_cndmask_b32_e32 v8, v10, v14, vcc_lo
	s_delay_alu instid0(VALU_DEP_2)
	v_cmpx_eq_u32_e32 1, v12
	s_cbranch_execz .LBB0_447
; %bb.442:                              ;   in Loop: Header=BB0_441 Depth=1
	s_mov_b32 s9, exec_lo
	s_delay_alu instid0(VALU_DEP_2)
	v_cmpx_le_u64_e64 v[8:9], v[6:7]
	s_xor_b32 s9, exec_lo, s9
; %bb.443:                              ;   in Loop: Header=BB0_441 Depth=1
	v_add_nc_u64_e32 v[8:9], v[8:9], v[0:1]
; %bb.444:                              ;   in Loop: Header=BB0_441 Depth=1
	s_and_not1_saveexec_b32 s9, s9
; %bb.445:                              ;   in Loop: Header=BB0_441 Depth=1
	s_delay_alu instid0(VALU_DEP_1)
	v_add_nc_u64_e32 v[8:9], v[4:5], v[8:9]
; %bb.446:                              ;   in Loop: Header=BB0_441 Depth=1
	s_or_b32 exec_lo, exec_lo, s9
.LBB0_447:                              ;   in Loop: Header=BB0_441 Depth=1
	s_delay_alu instid0(SALU_CYCLE_1) | instskip(NEXT) | instid1(VALU_DEP_1)
	s_or_b32 exec_lo, exec_lo, s8
	v_add_nc_u64_e32 v[10:11], s[0:1], v[8:9]
	s_add_co_i32 s8, s4, 2
	s_delay_alu instid0(SALU_CYCLE_1) | instskip(SKIP_1) | instid1(VALU_DEP_2)
	v_lshrrev_b64 v[12:13], s8, v[2:3]
	s_mov_b32 s8, exec_lo
	v_min_u64 v[8:9], v[8:9], v[10:11]
	s_delay_alu instid0(VALU_DEP_1) | instskip(SKIP_1) | instid1(VALU_DEP_2)
	v_lshlrev_b64_e32 v[10:11], 1, v[8:9]
	v_cmp_gt_i64_e32 vcc_lo, 0, v[8:9]
	v_add_nc_u64_e32 v[14:15], s[0:1], v[10:11]
	s_delay_alu instid0(VALU_DEP_1) | instskip(NEXT) | instid1(VALU_DEP_2)
	v_dual_cndmask_b32 v9, v11, v15, vcc_lo :: v_dual_bitop2_b32 v12, 1, v12 bitop3:0x40
	v_cndmask_b32_e32 v8, v10, v14, vcc_lo
	s_delay_alu instid0(VALU_DEP_2)
	v_cmpx_eq_u32_e32 1, v12
	s_cbranch_execz .LBB0_453
; %bb.448:                              ;   in Loop: Header=BB0_441 Depth=1
	s_mov_b32 s9, exec_lo
	s_delay_alu instid0(VALU_DEP_2)
	v_cmpx_le_u64_e64 v[8:9], v[6:7]
	s_xor_b32 s9, exec_lo, s9
; %bb.449:                              ;   in Loop: Header=BB0_441 Depth=1
	v_add_nc_u64_e32 v[8:9], v[8:9], v[0:1]
; %bb.450:                              ;   in Loop: Header=BB0_441 Depth=1
	s_and_not1_saveexec_b32 s9, s9
; %bb.451:                              ;   in Loop: Header=BB0_441 Depth=1
	s_delay_alu instid0(VALU_DEP_1)
	v_add_nc_u64_e32 v[8:9], v[4:5], v[8:9]
; %bb.452:                              ;   in Loop: Header=BB0_441 Depth=1
	s_or_b32 exec_lo, exec_lo, s9
.LBB0_453:                              ;   in Loop: Header=BB0_441 Depth=1
	s_delay_alu instid0(SALU_CYCLE_1) | instskip(NEXT) | instid1(VALU_DEP_1)
	s_or_b32 exec_lo, exec_lo, s8
	v_add_nc_u64_e32 v[10:11], s[0:1], v[8:9]
	s_add_co_i32 s8, s4, 1
	s_delay_alu instid0(SALU_CYCLE_1) | instskip(SKIP_1) | instid1(VALU_DEP_2)
	v_lshrrev_b64 v[12:13], s8, v[2:3]
	s_mov_b32 s8, exec_lo
	v_min_u64 v[8:9], v[8:9], v[10:11]
	s_delay_alu instid0(VALU_DEP_1) | instskip(SKIP_1) | instid1(VALU_DEP_2)
	v_lshlrev_b64_e32 v[10:11], 1, v[8:9]
	v_cmp_gt_i64_e32 vcc_lo, 0, v[8:9]
	v_add_nc_u64_e32 v[14:15], s[0:1], v[10:11]
	s_delay_alu instid0(VALU_DEP_1) | instskip(NEXT) | instid1(VALU_DEP_2)
	v_dual_cndmask_b32 v9, v11, v15, vcc_lo :: v_dual_bitop2_b32 v12, 1, v12 bitop3:0x40
	v_cndmask_b32_e32 v8, v10, v14, vcc_lo
	s_delay_alu instid0(VALU_DEP_2)
	v_cmpx_eq_u32_e32 1, v12
	s_cbranch_execz .LBB0_459
; %bb.454:                              ;   in Loop: Header=BB0_441 Depth=1
	s_mov_b32 s9, exec_lo
	s_delay_alu instid0(VALU_DEP_2)
	v_cmpx_le_u64_e64 v[8:9], v[6:7]
	s_xor_b32 s9, exec_lo, s9
; %bb.455:                              ;   in Loop: Header=BB0_441 Depth=1
	v_add_nc_u64_e32 v[8:9], v[8:9], v[0:1]
; %bb.456:                              ;   in Loop: Header=BB0_441 Depth=1
	s_and_not1_saveexec_b32 s9, s9
; %bb.457:                              ;   in Loop: Header=BB0_441 Depth=1
	s_delay_alu instid0(VALU_DEP_1)
	v_add_nc_u64_e32 v[8:9], v[4:5], v[8:9]
; %bb.458:                              ;   in Loop: Header=BB0_441 Depth=1
	s_or_b32 exec_lo, exec_lo, s9
.LBB0_459:                              ;   in Loop: Header=BB0_441 Depth=1
	s_delay_alu instid0(SALU_CYCLE_1) | instskip(NEXT) | instid1(VALU_DEP_1)
	s_or_b32 exec_lo, exec_lo, s8
	v_add_nc_u64_e32 v[10:11], s[0:1], v[8:9]
	v_lshrrev_b64 v[12:13], s4, v[2:3]
	s_mov_b32 s8, exec_lo
	s_delay_alu instid0(VALU_DEP_2) | instskip(NEXT) | instid1(VALU_DEP_1)
	v_min_u64 v[8:9], v[8:9], v[10:11]
	v_lshlrev_b64_e32 v[10:11], 1, v[8:9]
	v_cmp_gt_i64_e32 vcc_lo, 0, v[8:9]
	s_delay_alu instid0(VALU_DEP_2) | instskip(NEXT) | instid1(VALU_DEP_1)
	v_add_nc_u64_e32 v[14:15], s[0:1], v[10:11]
	v_dual_cndmask_b32 v9, v11, v15, vcc_lo :: v_dual_bitop2_b32 v12, 1, v12 bitop3:0x40
	s_delay_alu instid0(VALU_DEP_2) | instskip(NEXT) | instid1(VALU_DEP_2)
	v_cndmask_b32_e32 v8, v10, v14, vcc_lo
	v_cmpx_eq_u32_e32 1, v12
	s_cbranch_execz .LBB0_440
; %bb.460:                              ;   in Loop: Header=BB0_441 Depth=1
	s_mov_b32 s9, exec_lo
	s_delay_alu instid0(VALU_DEP_2)
	v_cmpx_le_u64_e64 v[8:9], v[6:7]
	s_xor_b32 s9, exec_lo, s9
; %bb.461:                              ;   in Loop: Header=BB0_441 Depth=1
	v_add_nc_u64_e32 v[8:9], v[8:9], v[0:1]
; %bb.462:                              ;   in Loop: Header=BB0_441 Depth=1
	s_and_not1_saveexec_b32 s9, s9
	s_cbranch_execz .LBB0_439
; %bb.463:                              ;   in Loop: Header=BB0_441 Depth=1
	s_delay_alu instid0(VALU_DEP_1)
	v_add_nc_u64_e32 v[8:9], v[4:5], v[8:9]
	s_branch .LBB0_439
.LBB0_464:
	s_or_b32 exec_lo, exec_lo, s6
	v_lshl_or_b32 v0, v23, 2, 0x2000c
	global_store_b32 v0, v8, s[2:3]
	s_endpgm
.LBB0_465:
	s_mov_b64 s[4:5], 0xffffffff
	v_mov_b64_e32 v[6:7], 0xffffffff00000000
	v_cmp_lt_u64_e32 vcc_lo, s[4:5], v[8:9]
	v_mov_b32_e32 v3, v8
	s_mov_b32 s5, 0
	s_mov_b32 s6, 0
                                        ; implicit-def: $vgpr6
	s_and_saveexec_b32 s4, vcc_lo
	s_cbranch_execz .LBB0_469
; %bb.466:
	v_mov_b64_e32 v[6:7], v[2:3]
	s_mov_b32 s6, -1
	s_mov_b32 s7, exec_lo
                                        ; implicit-def: $vgpr6
	v_cmpx_ne_u32_e64 v12, v10
; %bb.467:
	v_dual_add_nc_u32 v6, -1, v2 :: v_dual_add_nc_u32 v7, 1, v8
	s_mov_b32 s5, exec_lo
	s_xor_b32 s6, exec_lo, -1
; %bb.468:
	s_or_b32 exec_lo, exec_lo, s7
	s_delay_alu instid0(SALU_CYCLE_1)
	s_and_b32 s6, s6, exec_lo
	s_and_b32 s5, s5, exec_lo
.LBB0_469:
	s_or_b32 exec_lo, exec_lo, s4
	v_mov_b64_e32 v[4:5], v[2:3]
	v_mov_b32_e32 v2, v6
	s_and_b32 s4, s6, exec_lo
	s_or_not1_b32 s5, s5, exec_lo
	s_or_b32 exec_lo, exec_lo, s1
	v_mov_b64_e32 v[8:9], 0xffffffff
	s_and_saveexec_b32 s1, s5
	s_cbranch_execz .LBB0_245
.LBB0_470:
	v_mov_b32_e32 v3, 0
	s_or_b32 s4, s4, exec_lo
	s_delay_alu instid0(VALU_DEP_1)
	v_mov_b64_e32 v[8:9], v[2:3]
	s_or_b32 exec_lo, exec_lo, s1
	s_and_saveexec_b32 s1, s4
	s_cbranch_execnz .LBB0_246
	s_branch .LBB0_247
	.section	.rodata,"a",@progbits
	.p2align	6, 0x0
	.amdhsa_kernel _Z17intt_3_64k_modcrtPjPKm
		.amdhsa_group_segment_fixed_size 4096
		.amdhsa_private_segment_fixed_size 0
		.amdhsa_kernarg_size 16
		.amdhsa_user_sgpr_count 2
		.amdhsa_user_sgpr_dispatch_ptr 0
		.amdhsa_user_sgpr_queue_ptr 0
		.amdhsa_user_sgpr_kernarg_segment_ptr 1
		.amdhsa_user_sgpr_dispatch_id 0
		.amdhsa_user_sgpr_kernarg_preload_length 0
		.amdhsa_user_sgpr_kernarg_preload_offset 0
		.amdhsa_user_sgpr_private_segment_size 0
		.amdhsa_wavefront_size32 1
		.amdhsa_uses_dynamic_stack 0
		.amdhsa_enable_private_segment 0
		.amdhsa_system_sgpr_workgroup_id_x 1
		.amdhsa_system_sgpr_workgroup_id_y 0
		.amdhsa_system_sgpr_workgroup_id_z 0
		.amdhsa_system_sgpr_workgroup_info 0
		.amdhsa_system_vgpr_workitem_id 0
		.amdhsa_next_free_vgpr 37
		.amdhsa_next_free_sgpr 12
		.amdhsa_named_barrier_count 0
		.amdhsa_reserve_vcc 1
		.amdhsa_float_round_mode_32 0
		.amdhsa_float_round_mode_16_64 0
		.amdhsa_float_denorm_mode_32 3
		.amdhsa_float_denorm_mode_16_64 3
		.amdhsa_fp16_overflow 0
		.amdhsa_memory_ordered 1
		.amdhsa_forward_progress 1
		.amdhsa_inst_pref_size 104
		.amdhsa_round_robin_scheduling 0
		.amdhsa_exception_fp_ieee_invalid_op 0
		.amdhsa_exception_fp_denorm_src 0
		.amdhsa_exception_fp_ieee_div_zero 0
		.amdhsa_exception_fp_ieee_overflow 0
		.amdhsa_exception_fp_ieee_underflow 0
		.amdhsa_exception_fp_ieee_inexact 0
		.amdhsa_exception_int_div_zero 0
	.end_amdhsa_kernel
	.text
.Lfunc_end0:
	.size	_Z17intt_3_64k_modcrtPjPKm, .Lfunc_end0-_Z17intt_3_64k_modcrtPjPKm
                                        ; -- End function
	.set _Z17intt_3_64k_modcrtPjPKm.num_vgpr, 37
	.set _Z17intt_3_64k_modcrtPjPKm.num_agpr, 0
	.set _Z17intt_3_64k_modcrtPjPKm.numbered_sgpr, 12
	.set _Z17intt_3_64k_modcrtPjPKm.num_named_barrier, 0
	.set _Z17intt_3_64k_modcrtPjPKm.private_seg_size, 0
	.set _Z17intt_3_64k_modcrtPjPKm.uses_vcc, 1
	.set _Z17intt_3_64k_modcrtPjPKm.uses_flat_scratch, 0
	.set _Z17intt_3_64k_modcrtPjPKm.has_dyn_sized_stack, 0
	.set _Z17intt_3_64k_modcrtPjPKm.has_recursion, 0
	.set _Z17intt_3_64k_modcrtPjPKm.has_indirect_call, 0
	.section	.AMDGPU.csdata,"",@progbits
; Kernel info:
; codeLenInByte = 13304
; TotalNumSgprs: 14
; NumVgprs: 37
; ScratchSize: 0
; MemoryBound: 0
; FloatMode: 240
; IeeeMode: 1
; LDSByteSize: 4096 bytes/workgroup (compile time only)
; SGPRBlocks: 0
; VGPRBlocks: 2
; NumSGPRsForWavesPerEU: 14
; NumVGPRsForWavesPerEU: 37
; NamedBarCnt: 0
; Occupancy: 16
; WaveLimiterHint : 0
; COMPUTE_PGM_RSRC2:SCRATCH_EN: 0
; COMPUTE_PGM_RSRC2:USER_SGPR: 2
; COMPUTE_PGM_RSRC2:TRAP_HANDLER: 0
; COMPUTE_PGM_RSRC2:TGID_X_EN: 1
; COMPUTE_PGM_RSRC2:TGID_Y_EN: 0
; COMPUTE_PGM_RSRC2:TGID_Z_EN: 0
; COMPUTE_PGM_RSRC2:TIDIG_COMP_CNT: 0
	.text
	.p2alignl 7, 3214868480
	.fill 96, 4, 3214868480
	.section	.AMDGPU.gpr_maximums,"",@progbits
	.set amdgpu.max_num_vgpr, 0
	.set amdgpu.max_num_agpr, 0
	.set amdgpu.max_num_sgpr, 0
	.text
	.type	__hip_cuid_6556681877fb4d82,@object ; @__hip_cuid_6556681877fb4d82
	.section	.bss,"aw",@nobits
	.globl	__hip_cuid_6556681877fb4d82
__hip_cuid_6556681877fb4d82:
	.byte	0                               ; 0x0
	.size	__hip_cuid_6556681877fb4d82, 1

	.ident	"AMD clang version 22.0.0git (https://github.com/RadeonOpenCompute/llvm-project roc-7.2.4 26084 f58b06dce1f9c15707c5f808fd002e18c2accf7e)"
	.section	".note.GNU-stack","",@progbits
	.addrsig
	.addrsig_sym __hip_cuid_6556681877fb4d82
	.amdgpu_metadata
---
amdhsa.kernels:
  - .args:
      - .actual_access:  write_only
        .address_space:  global
        .offset:         0
        .size:           8
        .value_kind:     global_buffer
      - .actual_access:  read_only
        .address_space:  global
        .offset:         8
        .size:           8
        .value_kind:     global_buffer
    .group_segment_fixed_size: 4096
    .kernarg_segment_align: 8
    .kernarg_segment_size: 16
    .language:       OpenCL C
    .language_version:
      - 2
      - 0
    .max_flat_workgroup_size: 1024
    .name:           _Z17intt_3_64k_modcrtPjPKm
    .private_segment_fixed_size: 0
    .sgpr_count:     14
    .sgpr_spill_count: 0
    .symbol:         _Z17intt_3_64k_modcrtPjPKm.kd
    .uniform_work_group_size: 1
    .uses_dynamic_stack: false
    .vgpr_count:     37
    .vgpr_spill_count: 0
    .wavefront_size: 32
amdhsa.target:   amdgcn-amd-amdhsa--gfx1250
amdhsa.version:
  - 1
  - 2
...

	.end_amdgpu_metadata
